;; amdgpu-corpus repo=ROCm/rocFFT kind=compiled arch=gfx1030 opt=O3
	.text
	.amdgcn_target "amdgcn-amd-amdhsa--gfx1030"
	.amdhsa_code_object_version 6
	.protected	fft_rtc_back_len1782_factors_11_3_3_3_3_2_wgs_99_tpt_99_halfLds_half_op_CI_CI_unitstride_sbrr_dirReg ; -- Begin function fft_rtc_back_len1782_factors_11_3_3_3_3_2_wgs_99_tpt_99_halfLds_half_op_CI_CI_unitstride_sbrr_dirReg
	.globl	fft_rtc_back_len1782_factors_11_3_3_3_3_2_wgs_99_tpt_99_halfLds_half_op_CI_CI_unitstride_sbrr_dirReg
	.p2align	8
	.type	fft_rtc_back_len1782_factors_11_3_3_3_3_2_wgs_99_tpt_99_halfLds_half_op_CI_CI_unitstride_sbrr_dirReg,@function
fft_rtc_back_len1782_factors_11_3_3_3_3_2_wgs_99_tpt_99_halfLds_half_op_CI_CI_unitstride_sbrr_dirReg: ; @fft_rtc_back_len1782_factors_11_3_3_3_3_2_wgs_99_tpt_99_halfLds_half_op_CI_CI_unitstride_sbrr_dirReg
; %bb.0:
	s_clause 0x2
	s_load_dwordx4 s[12:15], s[4:5], 0x0
	s_load_dwordx4 s[8:11], s[4:5], 0x58
	;; [unrolled: 1-line block ×3, first 2 shown]
	v_mul_u32_u24_e32 v1, 0x296, v0
	v_mov_b32_e32 v3, 0
	v_mov_b32_e32 v7, 0
	;; [unrolled: 1-line block ×3, first 2 shown]
	v_add_nc_u32_sdwa v9, s6, v1 dst_sel:DWORD dst_unused:UNUSED_PAD src0_sel:DWORD src1_sel:WORD_1
	v_mov_b32_e32 v10, v3
	s_waitcnt lgkmcnt(0)
	v_cmp_lt_u64_e64 s0, s[14:15], 2
	s_and_b32 vcc_lo, exec_lo, s0
	s_cbranch_vccnz .LBB0_8
; %bb.1:
	s_load_dwordx2 s[0:1], s[4:5], 0x10
	v_mov_b32_e32 v7, 0
	v_mov_b32_e32 v8, 0
	s_add_u32 s2, s18, 8
	s_addc_u32 s3, s19, 0
	v_mov_b32_e32 v1, v7
	s_add_u32 s6, s16, 8
	v_mov_b32_e32 v2, v8
	s_addc_u32 s7, s17, 0
	s_mov_b64 s[22:23], 1
	s_waitcnt lgkmcnt(0)
	s_add_u32 s20, s0, 8
	s_addc_u32 s21, s1, 0
.LBB0_2:                                ; =>This Inner Loop Header: Depth=1
	s_load_dwordx2 s[24:25], s[20:21], 0x0
                                        ; implicit-def: $vgpr5_vgpr6
	s_mov_b32 s0, exec_lo
	s_waitcnt lgkmcnt(0)
	v_or_b32_e32 v4, s25, v10
	v_cmpx_ne_u64_e32 0, v[3:4]
	s_xor_b32 s1, exec_lo, s0
	s_cbranch_execz .LBB0_4
; %bb.3:                                ;   in Loop: Header=BB0_2 Depth=1
	v_cvt_f32_u32_e32 v4, s24
	v_cvt_f32_u32_e32 v5, s25
	s_sub_u32 s0, 0, s24
	s_subb_u32 s26, 0, s25
	v_fmac_f32_e32 v4, 0x4f800000, v5
	v_rcp_f32_e32 v4, v4
	v_mul_f32_e32 v4, 0x5f7ffffc, v4
	v_mul_f32_e32 v5, 0x2f800000, v4
	v_trunc_f32_e32 v5, v5
	v_fmac_f32_e32 v4, 0xcf800000, v5
	v_cvt_u32_f32_e32 v5, v5
	v_cvt_u32_f32_e32 v4, v4
	v_mul_lo_u32 v6, s0, v5
	v_mul_hi_u32 v11, s0, v4
	v_mul_lo_u32 v12, s26, v4
	v_add_nc_u32_e32 v6, v11, v6
	v_mul_lo_u32 v11, s0, v4
	v_add_nc_u32_e32 v6, v6, v12
	v_mul_hi_u32 v12, v4, v11
	v_mul_lo_u32 v13, v4, v6
	v_mul_hi_u32 v14, v4, v6
	v_mul_hi_u32 v15, v5, v11
	v_mul_lo_u32 v11, v5, v11
	v_mul_hi_u32 v16, v5, v6
	v_mul_lo_u32 v6, v5, v6
	v_add_co_u32 v12, vcc_lo, v12, v13
	v_add_co_ci_u32_e32 v13, vcc_lo, 0, v14, vcc_lo
	v_add_co_u32 v11, vcc_lo, v12, v11
	v_add_co_ci_u32_e32 v11, vcc_lo, v13, v15, vcc_lo
	v_add_co_ci_u32_e32 v12, vcc_lo, 0, v16, vcc_lo
	v_add_co_u32 v6, vcc_lo, v11, v6
	v_add_co_ci_u32_e32 v11, vcc_lo, 0, v12, vcc_lo
	v_add_co_u32 v4, vcc_lo, v4, v6
	v_add_co_ci_u32_e32 v5, vcc_lo, v5, v11, vcc_lo
	v_mul_hi_u32 v6, s0, v4
	v_mul_lo_u32 v12, s26, v4
	v_mul_lo_u32 v11, s0, v5
	v_add_nc_u32_e32 v6, v6, v11
	v_mul_lo_u32 v11, s0, v4
	v_add_nc_u32_e32 v6, v6, v12
	v_mul_hi_u32 v12, v4, v11
	v_mul_lo_u32 v13, v4, v6
	v_mul_hi_u32 v14, v4, v6
	v_mul_hi_u32 v15, v5, v11
	v_mul_lo_u32 v11, v5, v11
	v_mul_hi_u32 v16, v5, v6
	v_mul_lo_u32 v6, v5, v6
	v_add_co_u32 v12, vcc_lo, v12, v13
	v_add_co_ci_u32_e32 v13, vcc_lo, 0, v14, vcc_lo
	v_add_co_u32 v11, vcc_lo, v12, v11
	v_add_co_ci_u32_e32 v11, vcc_lo, v13, v15, vcc_lo
	v_add_co_ci_u32_e32 v12, vcc_lo, 0, v16, vcc_lo
	v_add_co_u32 v6, vcc_lo, v11, v6
	v_add_co_ci_u32_e32 v11, vcc_lo, 0, v12, vcc_lo
	v_add_co_u32 v6, vcc_lo, v4, v6
	v_add_co_ci_u32_e32 v13, vcc_lo, v5, v11, vcc_lo
	v_mul_hi_u32 v15, v9, v6
	v_mad_u64_u32 v[11:12], null, v10, v6, 0
	v_mad_u64_u32 v[4:5], null, v9, v13, 0
	;; [unrolled: 1-line block ×3, first 2 shown]
	v_add_co_u32 v4, vcc_lo, v15, v4
	v_add_co_ci_u32_e32 v5, vcc_lo, 0, v5, vcc_lo
	v_add_co_u32 v4, vcc_lo, v4, v11
	v_add_co_ci_u32_e32 v4, vcc_lo, v5, v12, vcc_lo
	v_add_co_ci_u32_e32 v5, vcc_lo, 0, v14, vcc_lo
	v_add_co_u32 v11, vcc_lo, v4, v13
	v_add_co_ci_u32_e32 v6, vcc_lo, 0, v5, vcc_lo
	v_mul_lo_u32 v12, s25, v11
	v_mad_u64_u32 v[4:5], null, s24, v11, 0
	v_mul_lo_u32 v13, s24, v6
	v_sub_co_u32 v4, vcc_lo, v9, v4
	v_add3_u32 v5, v5, v13, v12
	v_sub_nc_u32_e32 v12, v10, v5
	v_subrev_co_ci_u32_e64 v12, s0, s25, v12, vcc_lo
	v_add_co_u32 v13, s0, v11, 2
	v_add_co_ci_u32_e64 v14, s0, 0, v6, s0
	v_sub_co_u32 v15, s0, v4, s24
	v_sub_co_ci_u32_e32 v5, vcc_lo, v10, v5, vcc_lo
	v_subrev_co_ci_u32_e64 v12, s0, 0, v12, s0
	v_cmp_le_u32_e32 vcc_lo, s24, v15
	v_cmp_eq_u32_e64 s0, s25, v5
	v_cndmask_b32_e64 v15, 0, -1, vcc_lo
	v_cmp_le_u32_e32 vcc_lo, s25, v12
	v_cndmask_b32_e64 v16, 0, -1, vcc_lo
	v_cmp_le_u32_e32 vcc_lo, s24, v4
	;; [unrolled: 2-line block ×3, first 2 shown]
	v_cndmask_b32_e64 v17, 0, -1, vcc_lo
	v_cmp_eq_u32_e32 vcc_lo, s25, v12
	v_cndmask_b32_e64 v4, v17, v4, s0
	v_cndmask_b32_e32 v12, v16, v15, vcc_lo
	v_add_co_u32 v15, vcc_lo, v11, 1
	v_add_co_ci_u32_e32 v16, vcc_lo, 0, v6, vcc_lo
	v_cmp_ne_u32_e32 vcc_lo, 0, v12
	v_cndmask_b32_e32 v5, v16, v14, vcc_lo
	v_cndmask_b32_e32 v12, v15, v13, vcc_lo
	v_cmp_ne_u32_e32 vcc_lo, 0, v4
	v_cndmask_b32_e32 v6, v6, v5, vcc_lo
	v_cndmask_b32_e32 v5, v11, v12, vcc_lo
.LBB0_4:                                ;   in Loop: Header=BB0_2 Depth=1
	s_andn2_saveexec_b32 s0, s1
	s_cbranch_execz .LBB0_6
; %bb.5:                                ;   in Loop: Header=BB0_2 Depth=1
	v_cvt_f32_u32_e32 v4, s24
	s_sub_i32 s1, 0, s24
	v_rcp_iflag_f32_e32 v4, v4
	v_mul_f32_e32 v4, 0x4f7ffffe, v4
	v_cvt_u32_f32_e32 v4, v4
	v_mul_lo_u32 v5, s1, v4
	v_mul_hi_u32 v5, v4, v5
	v_add_nc_u32_e32 v4, v4, v5
	v_mul_hi_u32 v4, v9, v4
	v_mul_lo_u32 v5, v4, s24
	v_add_nc_u32_e32 v6, 1, v4
	v_sub_nc_u32_e32 v5, v9, v5
	v_subrev_nc_u32_e32 v11, s24, v5
	v_cmp_le_u32_e32 vcc_lo, s24, v5
	v_cndmask_b32_e32 v5, v5, v11, vcc_lo
	v_cndmask_b32_e32 v4, v4, v6, vcc_lo
	v_cmp_le_u32_e32 vcc_lo, s24, v5
	v_add_nc_u32_e32 v6, 1, v4
	v_cndmask_b32_e32 v5, v4, v6, vcc_lo
	v_mov_b32_e32 v6, v3
.LBB0_6:                                ;   in Loop: Header=BB0_2 Depth=1
	s_or_b32 exec_lo, exec_lo, s0
	v_mul_lo_u32 v4, v6, s24
	v_mul_lo_u32 v13, v5, s25
	s_load_dwordx2 s[0:1], s[6:7], 0x0
	v_mad_u64_u32 v[11:12], null, v5, s24, 0
	s_load_dwordx2 s[24:25], s[2:3], 0x0
	s_add_u32 s22, s22, 1
	s_addc_u32 s23, s23, 0
	s_add_u32 s2, s2, 8
	s_addc_u32 s3, s3, 0
	s_add_u32 s6, s6, 8
	v_add3_u32 v4, v12, v13, v4
	v_sub_co_u32 v9, vcc_lo, v9, v11
	s_addc_u32 s7, s7, 0
	s_add_u32 s20, s20, 8
	v_sub_co_ci_u32_e32 v4, vcc_lo, v10, v4, vcc_lo
	s_addc_u32 s21, s21, 0
	s_waitcnt lgkmcnt(0)
	v_mul_lo_u32 v10, s0, v4
	v_mul_lo_u32 v11, s1, v9
	v_mad_u64_u32 v[7:8], null, s0, v9, v[7:8]
	v_mul_lo_u32 v4, s24, v4
	v_mul_lo_u32 v12, s25, v9
	v_mad_u64_u32 v[1:2], null, s24, v9, v[1:2]
	v_cmp_ge_u64_e64 s0, s[22:23], s[14:15]
	v_add3_u32 v8, v11, v8, v10
	v_add3_u32 v2, v12, v2, v4
	s_and_b32 vcc_lo, exec_lo, s0
	s_cbranch_vccnz .LBB0_9
; %bb.7:                                ;   in Loop: Header=BB0_2 Depth=1
	v_mov_b32_e32 v10, v6
	v_mov_b32_e32 v9, v5
	s_branch .LBB0_2
.LBB0_8:
	v_mov_b32_e32 v1, v7
	v_mov_b32_e32 v5, v9
	;; [unrolled: 1-line block ×4, first 2 shown]
.LBB0_9:
	s_load_dwordx2 s[0:1], s[4:5], 0x28
	v_mul_hi_u32 v51, 0x295fad5, v0
	s_lshl_b64 s[4:5], s[14:15], 3
                                        ; implicit-def: $sgpr6
                                        ; implicit-def: $vgpr3
	s_add_u32 s2, s18, s4
	s_addc_u32 s3, s19, s5
	s_waitcnt lgkmcnt(0)
	v_cmp_gt_u64_e32 vcc_lo, s[0:1], v[5:6]
	v_cmp_le_u64_e64 s0, s[0:1], v[5:6]
	s_and_saveexec_b32 s1, s0
	s_xor_b32 s0, exec_lo, s1
; %bb.10:
	v_mul_u32_u24_e32 v3, 0x63, v51
	s_mov_b32 s6, 0
                                        ; implicit-def: $vgpr51
                                        ; implicit-def: $vgpr7_vgpr8
	v_sub_nc_u32_e32 v3, v0, v3
                                        ; implicit-def: $vgpr0
; %bb.11:
	s_or_saveexec_b32 s1, s0
	s_load_dwordx2 s[2:3], s[2:3], 0x0
	v_mov_b32_e32 v15, s6
	v_mov_b32_e32 v45, s6
                                        ; implicit-def: $vgpr9
                                        ; implicit-def: $vgpr52
                                        ; implicit-def: $vgpr50
                                        ; implicit-def: $vgpr41
                                        ; implicit-def: $vgpr49
                                        ; implicit-def: $vgpr39
                                        ; implicit-def: $vgpr48
                                        ; implicit-def: $vgpr38
                                        ; implicit-def: $vgpr47
                                        ; implicit-def: $vgpr37
                                        ; implicit-def: $vgpr10
                                        ; implicit-def: $vgpr4
                                        ; implicit-def: $vgpr11
                                        ; implicit-def: $vgpr28
                                        ; implicit-def: $vgpr46
                                        ; implicit-def: $vgpr40
                                        ; implicit-def: $vgpr14
                                        ; implicit-def: $vgpr42
                                        ; implicit-def: $vgpr13
                                        ; implicit-def: $vgpr43
                                        ; implicit-def: $vgpr12
                                        ; implicit-def: $vgpr44
                                        ; implicit-def: $vgpr36
                                        ; implicit-def: $vgpr27
                                        ; implicit-def: $vgpr34
                                        ; implicit-def: $vgpr26
                                        ; implicit-def: $vgpr32
                                        ; implicit-def: $vgpr25
                                        ; implicit-def: $vgpr31
                                        ; implicit-def: $vgpr24
                                        ; implicit-def: $vgpr18
                                        ; implicit-def: $vgpr16
                                        ; implicit-def: $vgpr19
                                        ; implicit-def: $vgpr17
                                        ; implicit-def: $vgpr20
                                        ; implicit-def: $vgpr35
                                        ; implicit-def: $vgpr21
                                        ; implicit-def: $vgpr33
                                        ; implicit-def: $vgpr22
                                        ; implicit-def: $vgpr30
                                        ; implicit-def: $vgpr23
                                        ; implicit-def: $vgpr29
	s_xor_b32 exec_lo, exec_lo, s1
	s_cbranch_execz .LBB0_15
; %bb.12:
	s_add_u32 s4, s16, s4
	s_addc_u32 s5, s17, s5
	v_mul_u32_u24_e32 v11, 0x63, v51
	s_load_dwordx2 s[4:5], s[4:5], 0x0
	v_lshlrev_b64 v[7:8], 2, v[7:8]
	v_mov_b32_e32 v45, 0
	v_mov_b32_e32 v15, 0
                                        ; implicit-def: $vgpr29
                                        ; implicit-def: $vgpr23
                                        ; implicit-def: $vgpr30
                                        ; implicit-def: $vgpr22
                                        ; implicit-def: $vgpr33
                                        ; implicit-def: $vgpr21
                                        ; implicit-def: $vgpr35
                                        ; implicit-def: $vgpr20
                                        ; implicit-def: $vgpr17
                                        ; implicit-def: $vgpr19
                                        ; implicit-def: $vgpr16
                                        ; implicit-def: $vgpr18
                                        ; implicit-def: $vgpr24
                                        ; implicit-def: $vgpr31
                                        ; implicit-def: $vgpr25
                                        ; implicit-def: $vgpr32
                                        ; implicit-def: $vgpr26
                                        ; implicit-def: $vgpr34
                                        ; implicit-def: $vgpr27
                                        ; implicit-def: $vgpr36
	s_waitcnt lgkmcnt(0)
	v_mul_lo_u32 v9, s5, v5
	v_mul_lo_u32 v10, s4, v6
	v_mad_u64_u32 v[3:4], null, s4, v5, 0
	v_add3_u32 v4, v4, v10, v9
	v_lshlrev_b64 v[9:10], 2, v[3:4]
	v_sub_nc_u32_e32 v3, v0, v11
	v_add_co_u32 v0, s0, s8, v9
	v_add_co_ci_u32_e64 v4, s0, s9, v10, s0
	v_lshlrev_b32_e32 v9, 2, v3
	v_add_co_u32 v0, s0, v0, v7
	v_add_co_ci_u32_e64 v4, s0, v4, v8, s0
	v_add_co_u32 v13, s0, v0, v9
	v_add_co_ci_u32_e64 v14, s0, 0, v4, s0
	;; [unrolled: 2-line block ×5, first 2 shown]
	s_clause 0xa
	global_load_dword v52, v[13:14], off
	global_load_dword v41, v[13:14], off offset:648
	global_load_dword v39, v[13:14], off offset:1296
	;; [unrolled: 1-line block ×10, first 2 shown]
	v_cmp_gt_u32_e64 s0, 63, v3
	s_and_saveexec_b32 s4, s0
	s_cbranch_execz .LBB0_14
; %bb.13:
	s_clause 0xa
	global_load_dword v45, v[13:14], off offset:396
	global_load_dword v27, v[13:14], off offset:1044
	;; [unrolled: 1-line block ×11, first 2 shown]
	s_waitcnt vmcnt(10)
	v_lshrrev_b32_e32 v15, 16, v45
	s_waitcnt vmcnt(9)
	v_lshrrev_b32_e32 v36, 16, v27
	;; [unrolled: 2-line block ×11, first 2 shown]
.LBB0_14:
	s_or_b32 exec_lo, exec_lo, s4
	s_waitcnt vmcnt(10)
	v_lshrrev_b32_e32 v9, 16, v52
	s_waitcnt vmcnt(9)
	v_lshrrev_b32_e32 v50, 16, v41
	;; [unrolled: 2-line block ×11, first 2 shown]
.LBB0_15:
	s_or_b32 exec_lo, exec_lo, s1
	v_add_f16_e32 v7, v41, v44
	v_sub_f16_e32 v8, v50, v12
	v_add_f16_e32 v53, v39, v43
	v_sub_f16_e32 v54, v49, v13
	v_add_f16_e32 v55, v38, v42
	v_mul_f16_e32 v61, 0xbbad, v7
	v_sub_f16_e32 v56, v48, v14
	v_mul_f16_e32 v63, 0x3abb, v53
	v_add_f16_e32 v57, v37, v40
	v_mul_f16_e32 v65, 0xb93d, v55
	v_fmamk_f16 v51, v8, 0xb482, v61
	v_sub_f16_e32 v58, v47, v46
	v_fmamk_f16 v71, v54, 0x3853, v63
	v_mul_f16_e32 v67, 0x36a6, v57
	v_pk_mul_f16 v70, 0x36a63abb, v7 op_sel_hi:[1,0]
	v_add_f16_e32 v51, v51, v52
	v_fmamk_f16 v73, v56, 0xba0c, v65
	v_add_f16_e32 v0, v52, v41
	v_pk_mul_f16 v72, 0xb93d36a6, v53 op_sel_hi:[1,0]
	v_fmamk_f16 v74, v58, 0x3b47, v67
	v_add_f16_e32 v51, v71, v51
	v_fmamk_f16 v75, v8, 0x3853, v70
	v_pk_fma_f16 v70, 0xbb47b853, v8, v70 op_sel_hi:[1,0,1]
	v_add_f16_e32 v0, v0, v39
	v_pk_mul_f16 v77, 0xb93db08e, v7 op_sel_hi:[1,0]
	v_add_f16_e32 v51, v73, v51
	v_fmamk_f16 v73, v54, 0x3b47, v72
	v_pk_fma_f16 v72, 0xba0cbb47, v54, v72 op_sel_hi:[1,0,1]
	v_add_f16_e32 v75, v75, v52
	v_pk_add_f16 v70, v70, v52 op_sel_hi:[1,0]
	v_add_f16_e32 v51, v74, v51
	v_pk_mul_f16 v74, 0xbbadb08e, v55 op_sel_hi:[1,0]
	v_add_f16_e32 v0, v0, v38
	v_add_f16_e32 v73, v73, v75
	v_pk_add_f16 v70, v72, v70
	v_pk_mul_f16 v75, 0xb08eb93d, v57 op_sel_hi:[1,0]
	v_fmamk_f16 v72, v56, 0x3beb, v74
	v_pk_fma_f16 v74, 0x3482bbeb, v56, v74 op_sel_hi:[1,0,1]
	v_mul_f16_e32 v62, 0xb482, v8
	v_add_f16_e32 v0, v0, v37
	v_pk_mul_f16 v78, 0xb08ebbad, v53 op_sel_hi:[1,0]
	v_add_f16_e32 v72, v72, v73
	v_fmamk_f16 v73, v58, 0x3a0c, v75
	v_pk_add_f16 v70, v74, v70
	v_pk_fma_f16 v74, 0x3bebba0c, v58, v75 op_sel_hi:[1,0,1]
	v_pk_fma_f16 v75, 0xba0cbbeb, v8, v77 op_sel_hi:[1,0,1]
	v_pk_mul_f16 v81, 0xba0cbbeb, v8 op_sel_hi:[1,0]
	v_mul_f16_e32 v64, 0x3853, v54
	v_add_f16_e32 v0, v0, v4
	v_pk_add_f16 v70, v74, v70
	v_pk_add_f16 v74, v75, v52 op_sel_hi:[1,0]
	v_pk_fma_f16 v75, 0x3beb3482, v54, v78 op_sel_hi:[1,0,1]
	v_pk_mul_f16 v79, 0x3abb36a6, v55 op_sel_hi:[1,0]
	v_bfi_b32 v61, 0xffff, v61, v77
	v_bfi_b32 v62, 0xffff, v62, v81
	v_pk_mul_f16 v77, 0x3beb3482, v54 op_sel_hi:[1,0]
	v_pk_mul_f16 v8, 0x3b473beb, v8 op_sel_hi:[1,0]
	v_mul_f16_e32 v66, 0xba0c, v56
	v_add_f16_e32 v0, v0, v28
	v_pk_add_f16 v74, v75, v74
	v_pk_fma_f16 v75, 0xb8533b47, v56, v79 op_sel_hi:[1,0,1]
	v_pk_mul_f16 v82, 0xbbad3abb, v57 op_sel_hi:[1,0]
	v_pk_mul_f16 v81, 0xb8533b47, v56 op_sel_hi:[1,0]
	v_pk_add_f16 v61, v61, v62 neg_lo:[0,1] neg_hi:[0,1]
	v_bfi_b32 v62, 0xffff, v63, v78
	v_bfi_b32 v63, 0xffff, v64, v77
	v_pk_fma_f16 v7, 0x36a6b08e, v7, v8 op_sel_hi:[1,0,1]
	v_pk_mul_f16 v8, 0x3a0cb482, v54 op_sel_hi:[1,0]
	v_add_f16_e32 v59, v4, v28
	v_sub_f16_e32 v60, v10, v11
	v_mul_f16_e32 v68, 0x3b47, v58
	v_add_f16_e32 v0, v0, v40
	v_pk_add_f16 v74, v75, v74
	v_pk_fma_f16 v75, 0xb482b853, v58, v82 op_sel_hi:[1,0,1]
	v_pk_mul_f16 v64, 0xb482b853, v58 op_sel_hi:[1,0]
	v_pk_add_f16 v61, v61, v52 op_sel_hi:[1,0]
	v_pk_add_f16 v62, v62, v63 neg_lo:[0,1] neg_hi:[0,1]
	v_bfi_b32 v63, 0xffff, v65, v79
	v_bfi_b32 v65, 0xffff, v66, v81
	v_pk_add_f16 v7, v7, v52 op_sel_hi:[1,0]
	v_pk_fma_f16 v8, 0xb93dbbad, v53, v8 op_sel_hi:[1,0,1]
	v_pk_mul_f16 v52, 0xb482bb47, v56 op_sel_hi:[1,0]
	v_mul_f16_e32 v69, 0xb08e, v59
	v_add_f16_e32 v0, v0, v42
	v_mul_f16_e32 v76, 0xbbeb, v60
	v_add_f16_e32 v72, v73, v72
	v_pk_mul_f16 v73, 0x3abbbbad, v59 op_sel_hi:[1,0]
	v_pk_add_f16 v74, v75, v74
	v_pk_mul_f16 v75, 0x36a6b93d, v59 op_sel_hi:[1,0]
	v_pk_mul_f16 v66, 0x3b47ba0c, v60 op_sel_hi:[1,0]
	v_pk_add_f16 v61, v62, v61
	v_pk_add_f16 v54, v63, v65 neg_lo:[0,1] neg_hi:[0,1]
	v_bfi_b32 v62, 0xffff, v67, v82
	v_bfi_b32 v63, 0xffff, v68, v64
	v_pk_add_f16 v7, v8, v7
	v_pk_fma_f16 v8, 0xbbad36a6, v55, v52 op_sel_hi:[1,0,1]
	v_pk_mul_f16 v52, 0xbbeb3853, v58 op_sel_hi:[1,0]
	v_fmamk_f16 v71, v60, 0xbbeb, v69
	v_add_f16_e32 v0, v0, v43
	v_fmamk_f16 v80, v60, 0x3482, v73
	v_pk_fma_f16 v73, 0x3853b482, v60, v73 op_sel_hi:[1,0,1]
	v_pk_fma_f16 v53, 0x3b47ba0c, v60, v75 op_sel_hi:[1,0,1]
	v_pk_add_f16 v54, v54, v61
	v_pk_add_f16 v56, v62, v63 neg_lo:[0,1] neg_hi:[0,1]
	v_bfi_b32 v55, 0xffff, v69, v75
	v_bfi_b32 v58, 0xffff, v76, v66
	v_pk_add_f16 v7, v8, v7
	v_pk_fma_f16 v8, 0xb08e3abb, v57, v52 op_sel_hi:[1,0,1]
	v_pk_mul_f16 v52, 0xb8533a0c, v60 op_sel_hi:[1,0]
	v_add_f16_e32 v0, v0, v44
	v_add_f16_e32 v71, v71, v51
	v_pk_add_f16 v54, v56, v54
	v_pk_add_f16 v55, v55, v58 neg_lo:[0,1] neg_hi:[0,1]
	v_pk_add_f16 v53, v53, v74
	v_pk_add_f16 v56, v73, v70
	;; [unrolled: 1-line block ×3, first 2 shown]
	v_pk_fma_f16 v8, 0x3abbb93d, v59, v52 op_sel_hi:[1,0,1]
	v_mad_u32_u24 v51, v3, 22, 0
	v_pk_add_f16 v55, v55, v54
	v_alignbit_b32 v54, v71, v53, 16
	v_alignbit_b32 v53, v53, v56, 16
	v_pack_b32_f16 v52, v0, v56
	v_cmp_gt_u32_e64 s0, 63, v3
	v_pk_add_f16 v0, v8, v7
	v_add_f16_e32 v7, v80, v72
	ds_write_b128 v51, v[52:55]
	ds_write_b32 v51, v0 offset:16
	ds_write_b16 v51, v7 offset:20
	s_and_saveexec_b32 s1, s0
	s_cbranch_execz .LBB0_17
; %bb.16:
	v_add_f16_e32 v7, v27, v35
	v_sub_f16_e32 v8, v36, v20
	v_add_f16_e32 v52, v26, v33
	v_sub_f16_e32 v53, v34, v21
	v_add_f16_e32 v54, v25, v30
	v_mul_f16_e32 v60, 0xbbad, v7
	v_sub_f16_e32 v55, v32, v22
	v_mul_f16_e32 v62, 0x3abb, v52
	v_add_f16_e32 v56, v24, v29
	v_mul_f16_e32 v64, 0xb93d, v54
	v_fmamk_f16 v70, v8, 0xb482, v60
	v_pk_mul_f16 v71, 0x36a63abb, v7 op_sel_hi:[1,0]
	v_fmamk_f16 v73, v53, 0x3853, v62
	v_sub_f16_e32 v57, v31, v23
	v_mul_f16_e32 v66, 0x36a6, v56
	v_add_f16_e32 v70, v45, v70
	v_pk_mul_f16 v72, 0xb93d36a6, v52 op_sel_hi:[1,0]
	v_fmamk_f16 v75, v55, 0xba0c, v64
	v_add_f16_e32 v0, v45, v27
	v_pk_mul_f16 v74, 0xbbadb08e, v54 op_sel_hi:[1,0]
	v_add_f16_e32 v70, v70, v73
	v_fmamk_f16 v73, v8, 0x3853, v71
	v_fmamk_f16 v76, v57, 0x3b47, v66
	;; [unrolled: 1-line block ×3, first 2 shown]
	v_pk_fma_f16 v71, 0xbb47b853, v8, v71 op_sel_hi:[1,0,1]
	v_add_f16_e32 v70, v70, v75
	v_add_f16_e32 v73, v45, v73
	;; [unrolled: 1-line block ×4, first 2 shown]
	v_pk_fma_f16 v72, 0xba0cbb47, v53, v72 op_sel_hi:[1,0,1]
	v_pk_add_f16 v71, v45, v71 op_sel_hi:[0,1]
	v_add_f16_e32 v70, v70, v76
	v_add_f16_e32 v73, v73, v77
	v_fmamk_f16 v75, v55, 0x3beb, v74
	v_pk_mul_f16 v76, 0xb08eb93d, v56 op_sel_hi:[1,0]
	v_add_f16_e32 v0, v0, v25
	v_sub_f16_e32 v59, v18, v19
	v_mul_f16_e32 v68, 0xb08e, v58
	v_pk_add_f16 v71, v71, v72
	v_pk_fma_f16 v72, 0x3482bbeb, v55, v74 op_sel_hi:[1,0,1]
	v_add_f16_e32 v73, v73, v75
	v_fmamk_f16 v75, v57, 0x3a0c, v76
	v_mul_f16_e32 v61, 0xb482, v8
	v_add_f16_e32 v0, v0, v24
	v_fmamk_f16 v74, v59, 0xbbeb, v68
	v_pk_mul_f16 v77, 0x3abbbbad, v58 op_sel_hi:[1,0]
	v_pk_add_f16 v71, v71, v72
	v_pk_fma_f16 v72, 0x3bebba0c, v57, v76 op_sel_hi:[1,0,1]
	v_add_f16_e32 v73, v73, v75
	v_pk_mul_f16 v75, 0xb93db08e, v7 op_sel_hi:[1,0]
	v_pk_mul_f16 v76, 0xba0cbbeb, v8 op_sel_hi:[1,0]
	v_mul_f16_e32 v63, 0x3853, v53
	v_add_f16_e32 v0, v0, v16
	v_add_f16_e32 v70, v74, v70
	v_fmamk_f16 v74, v59, 0x3482, v77
	v_pk_add_f16 v71, v71, v72
	v_pk_fma_f16 v72, 0x3853b482, v59, v77 op_sel_hi:[1,0,1]
	v_pk_mul_f16 v77, 0xb08ebbad, v52 op_sel_hi:[1,0]
	v_pk_fma_f16 v78, 0xba0cbbeb, v8, v75 op_sel_hi:[1,0,1]
	v_pk_mul_f16 v79, 0x3beb3482, v53 op_sel_hi:[1,0]
	v_bfi_b32 v60, 0xffff, v60, v75
	v_bfi_b32 v61, 0xffff, v61, v76
	v_pk_mul_f16 v8, 0x3b473beb, v8 op_sel_hi:[1,0]
	v_mul_f16_e32 v65, 0xba0c, v55
	v_add_f16_e32 v0, v0, v17
	v_pk_mul_f16 v80, 0x3abb36a6, v54 op_sel_hi:[1,0]
	v_pk_mul_f16 v81, 0xb8533b47, v55 op_sel_hi:[1,0]
	v_pk_add_f16 v78, v45, v78 op_sel_hi:[0,1]
	v_pk_fma_f16 v83, 0x3beb3482, v53, v77 op_sel_hi:[1,0,1]
	v_pk_add_f16 v60, v60, v61 neg_lo:[0,1] neg_hi:[0,1]
	v_bfi_b32 v61, 0xffff, v62, v77
	v_bfi_b32 v62, 0xffff, v63, v79
	v_pk_fma_f16 v7, 0x36a6b08e, v7, v8 op_sel_hi:[1,0,1]
	v_pk_mul_f16 v8, 0x3a0cb482, v53 op_sel_hi:[1,0]
	v_mul_f16_e32 v67, 0x3b47, v57
	v_add_f16_e32 v0, v0, v29
	v_pk_mul_f16 v82, 0xbbad3abb, v56 op_sel_hi:[1,0]
	v_pk_mul_f16 v75, 0xb482b853, v57 op_sel_hi:[1,0]
	v_pk_add_f16 v78, v78, v83
	v_pk_fma_f16 v83, 0xb8533b47, v55, v80 op_sel_hi:[1,0,1]
	v_pk_add_f16 v60, v45, v60 op_sel_hi:[0,1]
	v_pk_add_f16 v61, v61, v62 neg_lo:[0,1] neg_hi:[0,1]
	v_bfi_b32 v62, 0xffff, v64, v80
	v_bfi_b32 v64, 0xffff, v65, v81
	v_pk_add_f16 v7, v45, v7 op_sel_hi:[0,1]
	v_pk_fma_f16 v8, 0xb93dbbad, v52, v8 op_sel_hi:[1,0,1]
	v_pk_mul_f16 v45, 0xb482bb47, v55 op_sel_hi:[1,0]
	v_mul_f16_e32 v69, 0xbbeb, v59
	v_add_f16_e32 v0, v30, v0
	v_pk_mul_f16 v76, 0x36a6b93d, v58 op_sel_hi:[1,0]
	v_pk_mul_f16 v63, 0x3b47ba0c, v59 op_sel_hi:[1,0]
	v_pk_add_f16 v77, v78, v83
	v_pk_fma_f16 v78, 0xb482b853, v57, v82 op_sel_hi:[1,0,1]
	v_pk_add_f16 v60, v60, v61
	v_pk_add_f16 v53, v62, v64 neg_lo:[0,1] neg_hi:[0,1]
	v_bfi_b32 v61, 0xffff, v66, v82
	v_bfi_b32 v62, 0xffff, v67, v75
	v_pk_add_f16 v7, v7, v8
	v_pk_fma_f16 v8, 0xbbad36a6, v54, v45 op_sel_hi:[1,0,1]
	v_pk_mul_f16 v45, 0xbbeb3853, v57 op_sel_hi:[1,0]
	v_add_f16_e32 v0, v33, v0
	v_pk_add_f16 v65, v77, v78
	v_pk_fma_f16 v52, 0x3b47ba0c, v59, v76 op_sel_hi:[1,0,1]
	v_pk_add_f16 v53, v60, v53
	v_pk_add_f16 v55, v61, v62 neg_lo:[0,1] neg_hi:[0,1]
	v_bfi_b32 v54, 0xffff, v68, v76
	v_bfi_b32 v57, 0xffff, v69, v63
	v_pk_add_f16 v7, v7, v8
	v_pk_fma_f16 v8, 0xb08e3abb, v56, v45 op_sel_hi:[1,0,1]
	v_pk_mul_f16 v45, 0xb8533a0c, v59 op_sel_hi:[1,0]
	v_add_f16_e32 v0, v35, v0
	v_pk_add_f16 v53, v53, v55
	v_pk_add_f16 v54, v54, v57 neg_lo:[0,1] neg_hi:[0,1]
	v_pk_add_f16 v52, v52, v65
	v_pk_add_f16 v56, v72, v71
	;; [unrolled: 1-line block ×3, first 2 shown]
	v_pk_fma_f16 v8, 0x3abbb93d, v58, v45 op_sel_hi:[1,0,1]
	v_pk_add_f16 v55, v54, v53
	v_alignbit_b32 v54, v70, v52, 16
	v_alignbit_b32 v53, v52, v56, 16
	v_pack_b32_f16 v52, v0, v56
	v_pk_add_f16 v0, v8, v7
	v_add_f16_e32 v7, v74, v73
	ds_write_b128 v51, v[52:55] offset:2178
	ds_write_b32 v51, v0 offset:2194
	ds_write_b16 v51, v7 offset:2198
.LBB0_17:
	s_or_b32 exec_lo, exec_lo, s1
	v_add_f16_e32 v0, v9, v50
	v_sub_f16_e32 v8, v41, v44
	v_add_f16_e32 v7, v50, v12
	v_sub_f16_e32 v39, v39, v43
	v_add_f16_e32 v41, v49, v13
	v_add_f16_e32 v0, v0, v49
	v_pk_mul_f16 v53, 0xbb47b853, v8 op_sel_hi:[1,0]
	v_sub_f16_e32 v38, v38, v42
	v_add_f16_e32 v42, v47, v46
	v_pk_mul_f16 v54, 0xba0cbb47, v39 op_sel_hi:[1,0]
	v_add_f16_e32 v0, v0, v48
	v_add_f16_e32 v43, v48, v14
	v_pk_mul_f16 v55, 0x3482bbeb, v38 op_sel_hi:[1,0]
	v_mul_f16_e32 v44, 0xb482, v8
	v_fmamk_f16 v60, v41, 0x36a6, v54
	v_add_f16_e32 v0, v0, v47
	v_sub_f16_e32 v37, v37, v40
	v_mul_f16_e32 v48, 0x3853, v39
	v_fma_f16 v56, v7, 0xbbad, -v44
	v_mul_f16_e32 v49, 0xba0c, v38
	v_add_f16_e32 v0, v0, v10
	v_mul_f16_e32 v52, 0x3b47, v37
	v_fma_f16 v57, v41, 0x3abb, -v48
	v_add_f16_e32 v56, v56, v9
	v_fma_f16 v58, v43, 0xb93d, -v49
	v_add_f16_e32 v0, v0, v11
	v_add_f16_e32 v11, v10, v11
	v_sub_f16_e32 v4, v4, v28
	v_add_f16_e32 v56, v57, v56
	v_pk_mul_f16 v57, 0xb8533b47, v38 op_sel_hi:[1,0]
	v_add_f16_e32 v0, v0, v46
	v_fmamk_f16 v46, v7, 0x3abb, v53
	v_pk_fma_f16 v53, 0x36a63abb, v7, v53 op_sel_hi:[1,0,1] neg_lo:[0,0,1] neg_hi:[0,0,1]
	v_fma_f16 v59, v42, 0x36a6, -v52
	v_add_f16_e32 v56, v58, v56
	v_add_f16_e32 v0, v0, v14
	;; [unrolled: 1-line block ×3, first 2 shown]
	v_pk_fma_f16 v14, 0xb93d36a6, v41, v54 op_sel_hi:[1,0,1] neg_lo:[0,0,1] neg_hi:[0,0,1]
	v_fmamk_f16 v54, v43, 0xb08e, v55
	v_mul_f16_e32 v40, 0xbbad, v7
	v_add_f16_e32 v0, v0, v13
	v_pk_add_f16 v13, v53, v9 op_sel_hi:[1,0]
	v_add_f16_e32 v46, v60, v46
	v_pk_mul_f16 v53, 0x3bebba0c, v37 op_sel_hi:[1,0]
	v_add_f16_e32 v56, v59, v56
	v_add_f16_e32 v12, v0, v12
	v_pk_add_f16 v0, v14, v13
	v_add_f16_e32 v13, v54, v46
	v_pk_fma_f16 v14, 0xbbadb08e, v43, v55 op_sel_hi:[1,0,1] neg_lo:[0,0,1] neg_hi:[0,0,1]
	v_pk_mul_f16 v54, 0xba0cbbeb, v8 op_sel_hi:[1,0]
	v_fmamk_f16 v46, v42, 0xb93d, v53
	v_pk_fma_f16 v28, 0xb08eb93d, v42, v53 op_sel_hi:[1,0,1] neg_lo:[0,0,1] neg_hi:[0,0,1]
	v_pk_mul_f16 v53, 0x3853b482, v4 op_sel_hi:[1,0]
	v_pk_add_f16 v0, v14, v0
	v_pk_fma_f16 v10, 0xb93db08e, v7, v54 op_sel_hi:[1,0,1] neg_lo:[0,0,1] neg_hi:[0,0,1]
	v_pk_mul_f16 v14, 0x3beb3482, v39 op_sel_hi:[1,0]
	v_add_f16_e32 v13, v46, v13
	v_pk_mul_f16 v46, 0x3abbbbad, v11 op_sel_hi:[1,0]
	v_pk_add_f16 v58, v28, v0
	v_pk_add_f16 v10, v10, v9 op_sel_hi:[1,0]
	v_pk_fma_f16 v55, 0xb08ebbad, v41, v14 op_sel_hi:[1,0,1] neg_lo:[0,0,1] neg_hi:[0,0,1]
	v_pk_mul_f16 v28, 0xb482b853, v37 op_sel_hi:[1,0]
	v_pk_mul_f16 v8, 0xbb47bbeb, v8 op_sel_hi:[1,0]
	v_pk_fma_f16 v59, 0x3abbbbad, v11, v53 op_sel_hi:[1,0,1] neg_lo:[0,0,1] neg_hi:[0,0,1]
	v_add_f16_e32 v53, v46, v53
	v_pk_add_f16 v0, v55, v10
	v_pk_fma_f16 v10, 0x3abb36a6, v43, v57 op_sel_hi:[1,0,1] neg_lo:[0,0,1] neg_hi:[0,0,1]
	v_pk_mul_f16 v46, 0xb93db08e, v7 op_sel_hi:[1,0]
	v_pk_fma_f16 v7, 0x36a6b08e, v7, v8 op_sel_hi:[1,0,1]
	v_pk_mul_f16 v8, 0xba0c3482, v39 op_sel_hi:[1,0]
	v_mul_f16_e32 v45, 0x3abb, v41
	v_pk_add_f16 v0, v10, v0
	v_pk_fma_f16 v10, 0xbbad3abb, v42, v28 op_sel_hi:[1,0,1] neg_lo:[0,0,1] neg_hi:[0,0,1]
	v_pk_mul_f16 v55, 0xb08ebbad, v41 op_sel_hi:[1,0]
	v_mul_f16_e32 v47, 0xb93d, v43
	v_pk_mul_f16 v39, 0x3abb36a6, v43 op_sel_hi:[1,0]
	v_bfi_b32 v14, 0xffff, v48, v14
	v_pk_add_f16 v61, v10, v0
	v_pk_add_f16 v0, v7, v9 op_sel_hi:[1,0]
	v_pk_fma_f16 v7, 0xb93dbbad, v41, v8 op_sel_hi:[1,0,1]
	v_pk_mul_f16 v8, 0x34823b47, v38 op_sel_hi:[1,0]
	v_bfi_b32 v10, 0xffff, v40, v46
	v_bfi_b32 v38, 0xffff, v44, v54
	v_mul_f16_e32 v50, 0x36a6, v42
	v_pk_add_f16 v0, v7, v0
	v_pk_fma_f16 v7, 0xbbad36a6, v43, v8 op_sel_hi:[1,0,1]
	v_pk_mul_f16 v8, 0x3bebb853, v37 op_sel_hi:[1,0]
	v_pk_add_f16 v10, v10, v38
	v_bfi_b32 v37, 0xffff, v45, v55
	v_pk_mul_f16 v60, 0xbbad3abb, v42 op_sel_hi:[1,0]
	v_pk_add_f16 v0, v7, v0
	v_pk_fma_f16 v7, 0xb08e3abb, v42, v8 op_sel_hi:[1,0,1]
	v_pk_add_f16 v8, v10, v9 op_sel_hi:[1,0]
	v_pk_add_f16 v9, v37, v14
	v_bfi_b32 v10, 0xffff, v47, v39
	v_bfi_b32 v14, 0xffff, v49, v57
	v_pk_add_f16 v54, v7, v0
	v_pk_mul_f16 v40, 0x36a6b93d, v11 op_sel_hi:[1,0]
	v_pk_add_f16 v0, v9, v8
	v_pk_mul_f16 v38, 0x3b47ba0c, v4 op_sel_hi:[1,0]
	v_pk_add_f16 v8, v10, v14
	v_mul_f16_e32 v7, 0xbbeb, v4
	v_bfi_b32 v9, 0xffff, v50, v60
	v_bfi_b32 v10, 0xffff, v52, v28
	v_mul_f16_e32 v14, 0xb08e, v11
	v_pk_add_f16 v52, v8, v0
	v_mad_i32_i24 v0, 0xffffffec, v3, v51
	v_pk_fma_f16 v49, 0x36a6b93d, v11, v38 op_sel_hi:[1,0,1] neg_lo:[0,0,1] neg_hi:[0,0,1]
	v_fma_f16 v50, v11, 0xb08e, -v7
	v_pk_add_f16 v55, v9, v10
	v_bfi_b32 v57, 0xffff, v14, v40
	v_bfi_b32 v60, 0xffff, v7, v38
	s_waitcnt lgkmcnt(0)
	s_barrier
	buffer_gl0_inv
	ds_read_u16 v40, v0 offset:1386
	ds_read_u16 v39, v0 offset:2574
	;; [unrolled: 1-line block ×4, first 2 shown]
	ds_read_u16 v28, v0
	ds_read_u16 v14, v0 offset:198
	ds_read_u16 v10, v0 offset:396
	;; [unrolled: 1-line block ×13, first 2 shown]
	v_pk_mul_f16 v4, 0x3853ba0c, v4 op_sel_hi:[1,0]
	v_add_f16_e32 v50, v50, v56
	v_pk_add_f16 v56, v59, v58
	v_add_f16_e32 v13, v53, v13
	s_waitcnt lgkmcnt(0)
	v_pk_fma_f16 v4, 0x3abbb93d, v11, v4 op_sel_hi:[1,0,1]
	v_pk_add_f16 v11, v49, v61
	v_pk_add_f16 v49, v55, v52
	;; [unrolled: 1-line block ×3, first 2 shown]
	s_barrier
	v_pk_add_f16 v57, v4, v54
	v_alignbit_b32 v54, v50, v11, 16
	v_alignbit_b32 v53, v11, v56, 16
	v_pk_add_f16 v55, v52, v49
	v_pack_b32_f16 v52, v12, v56
	v_add_nc_u32_e32 v4, 0x63, v3
	buffer_gl0_inv
	ds_write_b128 v51, v[52:55]
	ds_write_b32 v51, v57 offset:16
	ds_write_b16 v51, v13 offset:20
	s_and_saveexec_b32 s1, s0
	s_cbranch_execz .LBB0_19
; %bb.18:
	v_add_f16_e32 v11, v15, v36
	v_sub_f16_e32 v13, v27, v35
	v_add_f16_e32 v12, v36, v20
	v_sub_f16_e32 v26, v26, v33
	v_add_f16_e32 v33, v32, v22
	v_add_f16_e32 v11, v11, v34
	;; [unrolled: 1-line block ×3, first 2 shown]
	v_pk_mul_f16 v51, 0xbb47b853, v13 op_sel_hi:[1,0]
	v_mul_f16_e32 v35, 0x3853, v26
	v_sub_f16_e32 v25, v25, v30
	v_add_f16_e32 v11, v11, v32
	v_mul_f16_e32 v32, 0xb482, v13
	v_pk_mul_f16 v52, 0xba0cbb47, v26 op_sel_hi:[1,0]
	v_fma_f16 v56, v27, 0x3abb, -v35
	v_fmamk_f16 v58, v12, 0x3abb, v51
	v_add_f16_e32 v11, v11, v31
	v_fma_f16 v54, v12, 0xbbad, -v32
	v_pk_fma_f16 v51, 0x36a63abb, v12, v51 op_sel_hi:[1,0,1] neg_lo:[0,0,1] neg_hi:[0,0,1]
	v_sub_f16_e32 v24, v24, v29
	v_pk_mul_f16 v53, 0x3482bbeb, v25 op_sel_hi:[1,0]
	v_add_f16_e32 v11, v11, v18
	v_add_f16_e32 v54, v15, v54
	v_pk_add_f16 v51, v15, v51 op_sel_hi:[0,1]
	v_add_f16_e32 v30, v31, v23
	v_mul_f16_e32 v36, 0xba0c, v25
	v_add_f16_e32 v11, v11, v19
	v_add_f16_e32 v54, v54, v56
	v_add_f16_e32 v56, v15, v58
	v_pk_mul_f16 v55, 0x3bebba0c, v24 op_sel_hi:[1,0]
	v_add_f16_e32 v18, v18, v19
	v_add_f16_e32 v11, v11, v23
	v_mul_f16_e32 v50, 0x3b47, v24
	v_fma_f16 v57, v33, 0xb93d, -v36
	v_sub_f16_e32 v16, v16, v17
	v_pk_mul_f16 v17, 0xba0cbbeb, v13 op_sel_hi:[1,0]
	v_add_f16_e32 v11, v22, v11
	v_fmamk_f16 v22, v27, 0x36a6, v52
	v_pk_fma_f16 v52, 0xb93d36a6, v27, v52 op_sel_hi:[1,0,1] neg_lo:[0,0,1] neg_hi:[0,0,1]
	v_fma_f16 v23, v30, 0x36a6, -v50
	v_add_f16_e32 v54, v54, v57
	v_add_f16_e32 v11, v21, v11
	v_fmamk_f16 v21, v33, 0xb08e, v53
	v_add_f16_e32 v22, v56, v22
	v_pk_add_f16 v19, v51, v52
	v_pk_fma_f16 v51, 0xb93db08e, v12, v17 op_sel_hi:[1,0,1] neg_lo:[0,0,1] neg_hi:[0,0,1]
	v_add_f16_e32 v11, v20, v11
	v_pk_fma_f16 v20, 0xbbadb08e, v33, v53 op_sel_hi:[1,0,1] neg_lo:[0,0,1] neg_hi:[0,0,1]
	v_add_f16_e32 v21, v22, v21
	v_fmamk_f16 v22, v30, 0xb93d, v55
	v_pk_mul_f16 v52, 0x3beb3482, v26 op_sel_hi:[1,0]
	v_mul_f16_e32 v29, 0xbbad, v12
	v_pk_add_f16 v19, v19, v20
	v_pk_fma_f16 v20, 0xb08eb93d, v30, v55 op_sel_hi:[1,0,1] neg_lo:[0,0,1] neg_hi:[0,0,1]
	v_add_f16_e32 v21, v21, v22
	v_pk_mul_f16 v22, 0x3853b482, v16 op_sel_hi:[1,0]
	v_add_f16_e32 v23, v54, v23
	v_pk_add_f16 v51, v15, v51 op_sel_hi:[0,1]
	v_pk_add_f16 v19, v19, v20
	v_pk_mul_f16 v20, 0x3abbbbad, v18 op_sel_hi:[1,0]
	v_pk_fma_f16 v53, 0x3abbbbad, v18, v22 op_sel_hi:[1,0,1] neg_lo:[0,0,1] neg_hi:[0,0,1]
	v_pk_fma_f16 v54, 0xb08ebbad, v27, v52 op_sel_hi:[1,0,1] neg_lo:[0,0,1] neg_hi:[0,0,1]
	v_pk_mul_f16 v13, 0xbb47bbeb, v13 op_sel_hi:[1,0]
	v_mul_f16_e32 v34, 0x3abb, v27
	v_add_f16_e32 v20, v20, v22
	v_pk_mul_f16 v22, 0xb93db08e, v12 op_sel_hi:[1,0]
	v_pk_mul_f16 v55, 0xb8533b47, v25 op_sel_hi:[1,0]
	v_pk_add_f16 v51, v51, v54
	v_pk_mul_f16 v54, 0xb08ebbad, v27 op_sel_hi:[1,0]
	v_pk_fma_f16 v12, 0x36a6b08e, v12, v13 op_sel_hi:[1,0,1]
	v_pk_mul_f16 v13, 0xba0c3482, v26 op_sel_hi:[1,0]
	v_bfi_b32 v22, 0xffff, v29, v22
	v_bfi_b32 v17, 0xffff, v32, v17
	v_mul_f16_e32 v31, 0xb93d, v33
	v_pk_add_f16 v19, v53, v19
	v_pk_fma_f16 v53, 0x3abb36a6, v33, v55 op_sel_hi:[1,0,1] neg_lo:[0,0,1] neg_hi:[0,0,1]
	v_pk_mul_f16 v57, 0x3abb36a6, v33 op_sel_hi:[1,0]
	v_pk_add_f16 v12, v15, v12 op_sel_hi:[0,1]
	v_pk_fma_f16 v13, 0xb93dbbad, v27, v13 op_sel_hi:[1,0,1]
	v_pk_mul_f16 v25, 0x34823b47, v25 op_sel_hi:[1,0]
	v_pk_add_f16 v17, v22, v17
	v_bfi_b32 v22, 0xffff, v34, v54
	v_bfi_b32 v27, 0xffff, v35, v52
	v_mul_f16_e32 v49, 0x36a6, v30
	v_pk_mul_f16 v56, 0xb482b853, v24 op_sel_hi:[1,0]
	v_pk_add_f16 v51, v51, v53
	v_pk_mul_f16 v53, 0xbbad3abb, v30 op_sel_hi:[1,0]
	v_pk_add_f16 v12, v12, v13
	v_pk_fma_f16 v13, 0xbbad36a6, v33, v25 op_sel_hi:[1,0,1]
	v_pk_add_f16 v15, v15, v17 op_sel_hi:[0,1]
	v_pk_add_f16 v17, v22, v27
	v_bfi_b32 v22, 0xffff, v31, v57
	v_bfi_b32 v25, 0xffff, v36, v55
	v_pk_fma_f16 v58, 0xbbad3abb, v30, v56 op_sel_hi:[1,0,1] neg_lo:[0,0,1] neg_hi:[0,0,1]
	v_pk_mul_f16 v29, 0x3b47ba0c, v16 op_sel_hi:[1,0]
	v_pk_mul_f16 v27, 0x36a6b93d, v18 op_sel_hi:[1,0]
	v_pk_add_f16 v12, v12, v13
	v_pk_add_f16 v13, v15, v17
	;; [unrolled: 1-line block ×3, first 2 shown]
	v_bfi_b32 v17, 0xffff, v49, v53
	v_bfi_b32 v22, 0xffff, v50, v56
	v_mul_f16_e32 v25, 0xb08e, v18
	v_mul_f16_e32 v32, 0xbbeb, v16
	v_pk_mul_f16 v24, 0x3bebb853, v24 op_sel_hi:[1,0]
	v_pk_add_f16 v26, v51, v58
	v_pk_fma_f16 v31, 0x36a6b93d, v18, v29 op_sel_hi:[1,0,1] neg_lo:[0,0,1] neg_hi:[0,0,1]
	v_pk_add_f16 v13, v13, v15
	v_pk_add_f16 v15, v17, v22
	v_bfi_b32 v17, 0xffff, v25, v27
	v_bfi_b32 v22, 0xffff, v32, v29
	v_fma_f16 v25, v18, 0xb08e, -v32
	v_pk_fma_f16 v24, 0xb08e3abb, v30, v24 op_sel_hi:[1,0,1]
	v_pk_mul_f16 v16, 0x3853ba0c, v16 op_sel_hi:[1,0]
	v_pk_add_f16 v13, v13, v15
	v_pk_add_f16 v15, v17, v22
	;; [unrolled: 1-line block ×3, first 2 shown]
	v_add_f16_e32 v17, v25, v23
	v_pk_add_f16 v12, v12, v24
	v_pk_fma_f16 v23, 0x3abbb93d, v18, v16 op_sel_hi:[1,0,1]
	v_pk_add_f16 v18, v15, v13
	v_mad_u32_u24 v13, v4, 22, 0
	v_alignbit_b32 v17, v17, v22, 16
	v_alignbit_b32 v16, v22, v19, 16
	v_pack_b32_f16 v15, v11, v19
	v_pk_add_f16 v11, v23, v12
	v_add_f16_e32 v12, v20, v21
	ds_write_b128 v13, v[15:18]
	ds_write_b32 v13, v11 offset:16
	ds_write_b16 v13, v12 offset:20
.LBB0_19:
	s_or_b32 exec_lo, exec_lo, s1
	v_add_nc_u32_e32 v12, 0x18c, v3
	v_mov_b32_e32 v16, 0xba2f
	v_add_nc_u32_e32 v13, 0x1ef, v3
	v_and_b32_e32 v18, 0xff, v3
	v_mov_b32_e32 v17, 3
	v_and_b32_e32 v19, 0xff, v4
	v_mul_u32_u24_sdwa v11, v12, v16 dst_sel:DWORD dst_unused:UNUSED_PAD src0_sel:WORD_0 src1_sel:DWORD
	v_mul_u32_u24_sdwa v15, v13, v16 dst_sel:DWORD dst_unused:UNUSED_PAD src0_sel:WORD_0 src1_sel:DWORD
	s_waitcnt lgkmcnt(0)
	s_barrier
	v_mul_lo_u16 v20, 0x75, v19
	v_lshrrev_b32_e32 v24, 19, v11
	v_lshrrev_b32_e32 v25, 19, v15
	buffer_gl0_inv
	v_mov_b32_e32 v79, 0x42
	v_mul_lo_u16 v11, v24, 11
	v_mul_lo_u16 v15, v25, 11
	v_mul_u32_u24_e32 v83, 0x42, v25
	v_sub_nc_u16 v27, v12, v11
	v_sub_nc_u16 v32, v13, v15
	v_mul_lo_u16 v11, 0x75, v18
	v_mul_lo_u16 v18, 0xf9, v18
	v_lshlrev_b32_sdwa v15, v17, v27 dst_sel:DWORD dst_unused:UNUSED_PAD src0_sel:DWORD src1_sel:WORD_0
	v_lshlrev_b32_sdwa v21, v17, v32 dst_sel:DWORD dst_unused:UNUSED_PAD src0_sel:DWORD src1_sel:WORD_0
	v_lshrrev_b16 v11, 8, v11
	s_clause 0x1
	global_load_dwordx2 v[29:30], v15, s[12:13]
	global_load_dwordx2 v[50:51], v21, s[12:13]
	v_lshrrev_b16 v15, 8, v20
	v_sub_nc_u16 v20, v3, v11
	v_sub_nc_u16 v21, v4, v15
	v_lshrrev_b16 v20, 1, v20
	v_lshrrev_b16 v21, 1, v21
	v_and_b32_e32 v20, 0x7f, v20
	v_and_b32_e32 v21, 0x7f, v21
	v_add_nc_u16 v20, v20, v11
	v_add_nc_u32_e32 v11, 0xc6, v3
	v_add_nc_u16 v21, v21, v15
	v_add_nc_u32_e32 v15, 0x129, v3
	v_lshrrev_b16 v60, 3, v20
	v_mul_u32_u24_sdwa v20, v11, v16 dst_sel:DWORD dst_unused:UNUSED_PAD src0_sel:WORD_0 src1_sel:DWORD
	v_lshrrev_b16 v61, 3, v21
	v_mul_u32_u24_sdwa v16, v15, v16 dst_sel:DWORD dst_unused:UNUSED_PAD src0_sel:WORD_0 src1_sel:DWORD
	v_mul_lo_u16 v21, v60, 11
	v_lshrrev_b32_e32 v26, 19, v20
	v_mul_lo_u16 v20, v61, 11
	v_lshrrev_b32_e32 v63, 19, v16
	v_sub_nc_u16 v62, v3, v21
	v_mul_lo_u16 v16, v26, 11
	v_sub_nc_u16 v64, v4, v20
	v_mul_lo_u16 v21, v63, 11
	v_lshlrev_b32_sdwa v20, v17, v62 dst_sel:DWORD dst_unused:UNUSED_PAD src0_sel:DWORD src1_sel:BYTE_0
	v_sub_nc_u16 v65, v11, v16
	v_mul_u32_u24_e32 v63, 0x42, v63
	v_lshlrev_b32_sdwa v16, v17, v64 dst_sel:DWORD dst_unused:UNUSED_PAD src0_sel:DWORD src1_sel:BYTE_0
	v_sub_nc_u16 v66, v15, v21
	global_load_dwordx2 v[52:53], v20, s[12:13]
	v_mul_lo_u16 v21, 0xf9, v19
	v_lshrrev_b16 v19, 13, v18
	global_load_dwordx2 v[54:55], v16, s[12:13]
	v_lshlrev_b32_sdwa v20, v17, v65 dst_sel:DWORD dst_unused:UNUSED_PAD src0_sel:DWORD src1_sel:WORD_0
	v_lshlrev_b32_sdwa v16, v17, v66 dst_sel:DWORD dst_unused:UNUSED_PAD src0_sel:DWORD src1_sel:WORD_0
	s_clause 0x1
	global_load_dwordx2 v[56:57], v20, s[12:13]
	global_load_dwordx2 v[58:59], v16, s[12:13]
	ds_read_u16 v67, v0 offset:2772
	ds_read_u16 v68, v0 offset:2970
	ds_read_u16 v49, v0
	ds_read_u16 v36, v0 offset:198
	ds_read_u16 v35, v0 offset:396
	;; [unrolled: 1-line block ×15, first 2 shown]
	v_mov_b32_e32 v20, 0xf83f
	v_mov_b32_e32 v16, 1
	s_waitcnt vmcnt(0) lgkmcnt(0)
	s_barrier
	buffer_gl0_inv
	v_mul_u32_u24_sdwa v22, v11, v20 dst_sel:DWORD dst_unused:UNUSED_PAD src0_sel:WORD_0 src1_sel:DWORD
	v_mul_u32_u24_sdwa v23, v15, v20 dst_sel:DWORD dst_unused:UNUSED_PAD src0_sel:WORD_0 src1_sel:DWORD
	;; [unrolled: 1-line block ×4, first 2 shown]
	v_lshrrev_b16 v20, 13, v21
	v_lshrrev_b32_e32 v21, 21, v22
	v_lshrrev_b32_e32 v22, 21, v23
	;; [unrolled: 1-line block ×4, first 2 shown]
	v_mul_u32_u24_e32 v80, 0x42, v26
	v_mul_u32_u24_e32 v81, 0x42, v24
	v_lshlrev_b32_sdwa v65, v16, v65 dst_sel:DWORD dst_unused:UNUSED_PAD src0_sel:DWORD src1_sel:WORD_0
	v_lshlrev_b32_sdwa v66, v16, v66 dst_sel:DWORD dst_unused:UNUSED_PAD src0_sel:DWORD src1_sel:WORD_0
	v_lshlrev_b32_sdwa v27, v16, v27 dst_sel:DWORD dst_unused:UNUSED_PAD src0_sel:DWORD src1_sel:WORD_0
	v_lshlrev_b32_sdwa v32, v16, v32 dst_sel:DWORD dst_unused:UNUSED_PAD src0_sel:DWORD src1_sel:WORD_0
	v_mul_lo_u16 v24, v19, 33
	v_add3_u32 v65, 0, v80, v65
	v_add3_u32 v63, 0, v63, v66
	;; [unrolled: 1-line block ×4, first 2 shown]
	v_mul_u32_u24_sdwa v27, v60, v79 dst_sel:DWORD dst_unused:UNUSED_PAD src0_sel:WORD_0 src1_sel:DWORD
	v_mul_u32_u24_sdwa v32, v61, v79 dst_sel:DWORD dst_unused:UNUSED_PAD src0_sel:WORD_0 src1_sel:DWORD
	v_lshlrev_b32_sdwa v60, v16, v62 dst_sel:DWORD dst_unused:UNUSED_PAD src0_sel:DWORD src1_sel:BYTE_0
	v_lshlrev_b32_sdwa v61, v16, v64 dst_sel:DWORD dst_unused:UNUSED_PAD src0_sel:DWORD src1_sel:BYTE_0
	v_mul_lo_u16 v26, v20, 33
	v_mul_lo_u16 v82, v21, 33
	;; [unrolled: 1-line block ×3, first 2 shown]
	v_add3_u32 v60, 0, v27, v60
	v_add3_u32 v61, 0, v32, v61
	v_sub_nc_u16 v24, v3, v24
	v_sub_nc_u16 v25, v4, v26
	;; [unrolled: 1-line block ×3, first 2 shown]
	v_lshlrev_b32_sdwa v82, v17, v24 dst_sel:DWORD dst_unused:UNUSED_PAD src0_sel:DWORD src1_sel:BYTE_0
	v_lshlrev_b32_sdwa v85, v17, v25 dst_sel:DWORD dst_unused:UNUSED_PAD src0_sel:DWORD src1_sel:BYTE_0
	v_mul_f16_sdwa v27, v71, v29 dst_sel:DWORD dst_unused:UNUSED_PAD src0_sel:DWORD src1_sel:WORD_1
	v_mul_f16_sdwa v32, v45, v29 dst_sel:DWORD dst_unused:UNUSED_PAD src0_sel:DWORD src1_sel:WORD_1
	v_mul_f16_sdwa v62, v77, v30 dst_sel:DWORD dst_unused:UNUSED_PAD src0_sel:DWORD src1_sel:WORD_1
	v_mul_f16_sdwa v64, v48, v30 dst_sel:DWORD dst_unused:UNUSED_PAD src0_sel:DWORD src1_sel:WORD_1
	v_mul_f16_sdwa v79, v76, v50 dst_sel:DWORD dst_unused:UNUSED_PAD src0_sel:DWORD src1_sel:WORD_1
	v_mul_f16_sdwa v81, v46, v50 dst_sel:DWORD dst_unused:UNUSED_PAD src0_sel:DWORD src1_sel:WORD_1
	v_mul_f16_sdwa v83, v78, v51 dst_sel:DWORD dst_unused:UNUSED_PAD src0_sel:DWORD src1_sel:WORD_1
	v_mul_f16_sdwa v86, v47, v51 dst_sel:DWORD dst_unused:UNUSED_PAD src0_sel:DWORD src1_sel:WORD_1
	v_fmac_f16_e32 v27, v45, v29
	v_fma_f16 v29, v71, v29, -v32
	v_fmac_f16_e32 v62, v48, v30
	v_fma_f16 v30, v77, v30, -v64
	;; [unrolled: 2-line block ×4, first 2 shown]
	v_add_f16_e32 v47, v27, v62
	v_sub_f16_e32 v48, v29, v30
	v_add_f16_e32 v50, v31, v29
	v_add_f16_e32 v29, v29, v30
	;; [unrolled: 1-line block ×3, first 2 shown]
	v_sub_f16_e32 v71, v32, v45
	v_add_f16_e32 v76, v34, v32
	v_add_f16_e32 v32, v32, v45
	;; [unrolled: 1-line block ×4, first 2 shown]
	v_sub_f16_e32 v27, v27, v62
	v_sub_f16_e32 v77, v79, v83
	v_fmac_f16_e32 v7, -0.5, v47
	v_fmac_f16_e32 v31, -0.5, v29
	;; [unrolled: 1-line block ×4, first 2 shown]
	v_add_f16_e32 v46, v46, v62
	v_add_f16_e32 v29, v51, v83
	;; [unrolled: 1-line block ×4, first 2 shown]
	v_fmamk_f16 v30, v48, 0xbaee, v7
	v_fmac_f16_e32 v7, 0x3aee, v48
	v_fmamk_f16 v48, v27, 0x3aee, v31
	v_fmac_f16_e32 v31, 0xbaee, v27
	;; [unrolled: 2-line block ×4, first 2 shown]
	v_mul_f16_sdwa v32, v73, v52 dst_sel:DWORD dst_unused:UNUSED_PAD src0_sel:DWORD src1_sel:WORD_1
	v_mul_f16_sdwa v51, v43, v52 dst_sel:DWORD dst_unused:UNUSED_PAD src0_sel:DWORD src1_sel:WORD_1
	v_mul_f16_sdwa v62, v75, v53 dst_sel:DWORD dst_unused:UNUSED_PAD src0_sel:DWORD src1_sel:WORD_1
	v_mul_f16_sdwa v64, v44, v53 dst_sel:DWORD dst_unused:UNUSED_PAD src0_sel:DWORD src1_sel:WORD_1
	v_mul_f16_sdwa v71, v72, v54 dst_sel:DWORD dst_unused:UNUSED_PAD src0_sel:DWORD src1_sel:WORD_1
	v_mul_f16_sdwa v76, v40, v54 dst_sel:DWORD dst_unused:UNUSED_PAD src0_sel:DWORD src1_sel:WORD_1
	v_mul_f16_sdwa v77, v74, v55 dst_sel:DWORD dst_unused:UNUSED_PAD src0_sel:DWORD src1_sel:WORD_1
	v_mul_f16_sdwa v78, v39, v55 dst_sel:DWORD dst_unused:UNUSED_PAD src0_sel:DWORD src1_sel:WORD_1
	v_mul_f16_sdwa v79, v69, v56 dst_sel:DWORD dst_unused:UNUSED_PAD src0_sel:DWORD src1_sel:WORD_1
	v_mul_f16_sdwa v83, v67, v57 dst_sel:DWORD dst_unused:UNUSED_PAD src0_sel:DWORD src1_sel:WORD_1
	v_mul_f16_sdwa v87, v70, v58 dst_sel:DWORD dst_unused:UNUSED_PAD src0_sel:DWORD src1_sel:WORD_1
	v_mul_f16_sdwa v89, v68, v59 dst_sel:DWORD dst_unused:UNUSED_PAD src0_sel:DWORD src1_sel:WORD_1
	v_mul_f16_sdwa v81, v42, v56 dst_sel:DWORD dst_unused:UNUSED_PAD src0_sel:DWORD src1_sel:WORD_1
	v_mul_f16_sdwa v86, v38, v57 dst_sel:DWORD dst_unused:UNUSED_PAD src0_sel:DWORD src1_sel:WORD_1
	v_mul_f16_sdwa v88, v41, v58 dst_sel:DWORD dst_unused:UNUSED_PAD src0_sel:DWORD src1_sel:WORD_1
	v_mul_f16_sdwa v90, v37, v59 dst_sel:DWORD dst_unused:UNUSED_PAD src0_sel:DWORD src1_sel:WORD_1
	v_fmac_f16_e32 v32, v43, v52
	v_fma_f16 v43, v73, v52, -v51
	v_fmac_f16_e32 v62, v44, v53
	v_fma_f16 v44, v75, v53, -v64
	;; [unrolled: 2-line block ×4, first 2 shown]
	v_fmac_f16_e32 v79, v42, v56
	v_fmac_f16_e32 v83, v38, v57
	;; [unrolled: 1-line block ×4, first 2 shown]
	v_fma_f16 v42, v69, v56, -v81
	v_fma_f16 v38, v67, v57, -v86
	;; [unrolled: 1-line block ×4, first 2 shown]
	v_add_f16_e32 v52, v32, v62
	v_sub_f16_e32 v53, v43, v44
	v_add_f16_e32 v54, v49, v43
	v_add_f16_e32 v43, v43, v44
	;; [unrolled: 1-line block ×3, first 2 shown]
	v_sub_f16_e32 v57, v40, v39
	v_add_f16_e32 v58, v36, v40
	v_add_f16_e32 v40, v40, v39
	;; [unrolled: 1-line block ×5, first 2 shown]
	v_sub_f16_e32 v68, v42, v38
	v_add_f16_e32 v69, v35, v42
	v_add_f16_e32 v42, v42, v38
	v_sub_f16_e32 v73, v41, v37
	v_add_f16_e32 v74, v33, v41
	v_add_f16_e32 v41, v41, v37
	v_sub_f16_e32 v32, v32, v62
	v_fmac_f16_e32 v28, -0.5, v52
	v_fmac_f16_e32 v49, -0.5, v43
	v_add_f16_e32 v55, v14, v71
	v_sub_f16_e32 v59, v71, v77
	v_add_f16_e32 v64, v10, v79
	v_add_f16_e32 v71, v8, v87
	v_fmac_f16_e32 v14, -0.5, v56
	v_fmac_f16_e32 v36, -0.5, v40
	;; [unrolled: 1-line block ×4, first 2 shown]
	v_sub_f16_e32 v70, v79, v83
	v_sub_f16_e32 v75, v87, v89
	v_add_f16_e32 v51, v51, v62
	v_add_f16_e32 v44, v54, v44
	v_fmac_f16_e32 v35, -0.5, v42
	v_fmac_f16_e32 v33, -0.5, v41
	v_fmamk_f16 v41, v53, 0xbaee, v28
	v_fmamk_f16 v52, v32, 0x3aee, v49
	v_fmac_f16_e32 v28, 0x3aee, v53
	v_fmac_f16_e32 v49, 0xbaee, v32
	v_add_f16_e32 v43, v55, v77
	v_add_f16_e32 v39, v58, v39
	v_fmamk_f16 v32, v57, 0xbaee, v14
	v_fmac_f16_e32 v14, 0x3aee, v57
	v_fmamk_f16 v53, v59, 0x3aee, v36
	v_fmamk_f16 v54, v68, 0xbaee, v10
	;; [unrolled: 1-line block ×3, first 2 shown]
	v_add_f16_e32 v40, v64, v83
	v_add_f16_e32 v38, v69, v38
	;; [unrolled: 1-line block ×4, first 2 shown]
	v_fmac_f16_e32 v36, 0xbaee, v59
	v_fmac_f16_e32 v10, 0x3aee, v68
	v_fmamk_f16 v55, v70, 0x3aee, v35
	v_fmac_f16_e32 v35, 0xbaee, v70
	v_fmac_f16_e32 v8, 0x3aee, v73
	v_fmamk_f16 v57, v75, 0x3aee, v33
	v_fmac_f16_e32 v33, 0xbaee, v75
	ds_write_b16 v60, v51
	ds_write_b16 v60, v41 offset:22
	ds_write_b16 v60, v28 offset:44
	ds_write_b16 v61, v43
	ds_write_b16 v61, v32 offset:22
	ds_write_b16 v61, v14 offset:44
	;; [unrolled: 3-line block ×6, first 2 shown]
	s_waitcnt lgkmcnt(0)
	s_barrier
	buffer_gl0_inv
	ds_read_u16 v46, v0 offset:2772
	ds_read_u16 v51, v0 offset:2970
	ds_read_u16 v32, v0
	ds_read_u16 v30, v0 offset:198
	ds_read_u16 v29, v0 offset:396
	;; [unrolled: 1-line block ×15, first 2 shown]
	s_waitcnt lgkmcnt(0)
	s_barrier
	buffer_gl0_inv
	ds_write_b16 v60, v44
	ds_write_b16 v60, v52 offset:22
	ds_write_b16 v60, v49 offset:44
	ds_write_b16 v61, v39
	ds_write_b16 v61, v53 offset:22
	ds_write_b16 v61, v36 offset:44
	;; [unrolled: 3-line block ×6, first 2 shown]
	v_mul_lo_u16 v7, v23, 33
	v_sub_nc_u16 v31, v15, v84
	v_mul_lo_u16 v9, v18, 33
	v_lshlrev_b32_sdwa v8, v17, v26 dst_sel:DWORD dst_unused:UNUSED_PAD src0_sel:DWORD src1_sel:WORD_0
	s_waitcnt lgkmcnt(0)
	v_sub_nc_u16 v45, v12, v7
	v_lshlrev_b32_sdwa v7, v17, v31 dst_sel:DWORD dst_unused:UNUSED_PAD src0_sel:DWORD src1_sel:WORD_0
	v_sub_nc_u16 v47, v13, v9
	s_barrier
	buffer_gl0_inv
	s_clause 0x3
	global_load_dwordx2 v[33:34], v82, s[12:13] offset:88
	global_load_dwordx2 v[35:36], v85, s[12:13] offset:88
	;; [unrolled: 1-line block ×4, first 2 shown]
	v_lshlrev_b32_sdwa v8, v17, v45 dst_sel:DWORD dst_unused:UNUSED_PAD src0_sel:DWORD src1_sel:WORD_0
	v_lshlrev_b32_sdwa v7, v17, v47 dst_sel:DWORD dst_unused:UNUSED_PAD src0_sel:DWORD src1_sel:WORD_0
	s_clause 0x1
	global_load_dwordx2 v[41:42], v8, s[12:13] offset:88
	global_load_dwordx2 v[43:44], v7, s[12:13] offset:88
	v_mov_b32_e32 v9, 0xa57f
	v_mov_b32_e32 v17, 0xc6
	v_mul_u32_u24_e32 v18, 0xc6, v18
	v_lshlrev_b32_e32 v7, 1, v3
	v_mov_b32_e32 v8, 0
	v_mul_u32_u24_sdwa v48, v11, v9 dst_sel:DWORD dst_unused:UNUSED_PAD src0_sel:WORD_0 src1_sel:DWORD
	v_mul_u32_u24_sdwa v49, v15, v9 dst_sel:DWORD dst_unused:UNUSED_PAD src0_sel:WORD_0 src1_sel:DWORD
	;; [unrolled: 1-line block ×5, first 2 shown]
	v_lshrrev_b32_e32 v48, 22, v48
	v_lshrrev_b32_e32 v49, 22, v49
	v_mul_u32_u24_sdwa v17, v20, v17 dst_sel:DWORD dst_unused:UNUSED_PAD src0_sel:WORD_0 src1_sel:DWORD
	v_mul_u32_u24_e32 v20, 0xc6, v21
	v_mul_u32_u24_e32 v21, 0xc6, v22
	;; [unrolled: 1-line block ×3, first 2 shown]
	v_mul_lo_u16 v23, 0x63, v48
	v_mul_lo_u16 v48, 0x63, v49
	v_lshrrev_b32_e32 v50, 22, v50
	v_lshrrev_b32_e32 v52, 22, v52
	v_lshlrev_b64 v[9:10], 2, v[7:8]
	v_sub_nc_u16 v23, v11, v23
	v_sub_nc_u16 v48, v15, v48
	v_lshlrev_b32_sdwa v15, v16, v24 dst_sel:DWORD dst_unused:UNUSED_PAD src0_sel:DWORD src1_sel:BYTE_0
	v_lshlrev_b32_sdwa v24, v16, v25 dst_sel:DWORD dst_unused:UNUSED_PAD src0_sel:DWORD src1_sel:BYTE_0
	v_lshlrev_b32_sdwa v25, v16, v26 dst_sel:DWORD dst_unused:UNUSED_PAD src0_sel:DWORD src1_sel:WORD_0
	v_lshlrev_b32_sdwa v26, v16, v31 dst_sel:DWORD dst_unused:UNUSED_PAD src0_sel:DWORD src1_sel:WORD_0
	;; [unrolled: 1-line block ×4, first 2 shown]
	v_mul_lo_u16 v49, 0x63, v50
	v_mul_lo_u16 v50, 0x63, v52
	v_and_b32_e32 v45, 0xffff, v23
	v_add3_u32 v15, 0, v19, v15
	v_add3_u32 v17, 0, v17, v24
	;; [unrolled: 1-line block ×6, first 2 shown]
	ds_read_u16 v18, v0 offset:1188
	ds_read_u16 v22, v0 offset:1386
	;; [unrolled: 1-line block ×7, first 2 shown]
	ds_read_u16 v47, v0
	ds_read_u16 v52, v0 offset:198
	ds_read_u16 v53, v0 offset:396
	;; [unrolled: 1-line block ×10, first 2 shown]
	v_sub_nc_u16 v12, v12, v49
	s_waitcnt vmcnt(0) lgkmcnt(0)
	s_barrier
	buffer_gl0_inv
	v_add_co_u32 v9, s0, s12, v9
	v_add_co_ci_u32_e64 v10, s0, s13, v10, s0
	v_mul_f16_sdwa v72, v18, v33 dst_sel:DWORD dst_unused:UNUSED_PAD src0_sel:DWORD src1_sel:WORD_1
	v_mul_f16_sdwa v73, v62, v33 dst_sel:DWORD dst_unused:UNUSED_PAD src0_sel:DWORD src1_sel:WORD_1
	;; [unrolled: 1-line block ×23, first 2 shown]
	v_fmac_f16_e32 v72, v62, v33
	v_mul_f16_sdwa v62, v70, v44 dst_sel:DWORD dst_unused:UNUSED_PAD src0_sel:DWORD src1_sel:WORD_1
	v_fma_f16 v18, v18, v33, -v73
	v_fmac_f16_e32 v74, v67, v34
	v_fma_f16 v24, v24, v34, -v75
	v_fmac_f16_e32 v76, v59, v35
	;; [unrolled: 2-line block ×4, first 2 shown]
	v_fmac_f16_e32 v82, v46, v38
	v_fmac_f16_e32 v84, v56, v39
	;; [unrolled: 1-line block ×7, first 2 shown]
	v_fma_f16 v23, v23, v37, -v81
	v_fma_f16 v26, v26, v38, -v83
	;; [unrolled: 1-line block ×8, first 2 shown]
	v_add_f16_e32 v39, v72, v74
	v_sub_f16_e32 v40, v18, v24
	v_add_f16_e32 v41, v47, v18
	v_add_f16_e32 v18, v18, v24
	;; [unrolled: 1-line block ×3, first 2 shown]
	v_sub_f16_e32 v46, v22, v25
	v_add_f16_e32 v51, v52, v22
	v_add_f16_e32 v22, v22, v25
	v_add_f16_e32 v58, v80, v82
	v_add_f16_e32 v64, v84, v86
	v_add_f16_e32 v69, v88, v90
	v_add_f16_e32 v75, v92, v94
	v_add_f16_e32 v38, v32, v72
	v_add_f16_e32 v43, v30, v76
	v_sub_f16_e32 v54, v76, v78
	v_sub_f16_e32 v59, v23, v26
	v_add_f16_e32 v60, v53, v23
	v_add_f16_e32 v23, v23, v26
	v_sub_f16_e32 v65, v33, v31
	v_add_f16_e32 v66, v55, v33
	v_add_f16_e32 v33, v33, v31
	;; [unrolled: 3-line block ×4, first 2 shown]
	v_sub_f16_e32 v42, v72, v74
	v_fmac_f16_e32 v32, -0.5, v39
	v_fmac_f16_e32 v47, -0.5, v18
	v_add_f16_e32 v56, v29, v80
	v_add_f16_e32 v62, v27, v84
	;; [unrolled: 1-line block ×4, first 2 shown]
	v_fmac_f16_e32 v30, -0.5, v44
	v_fmac_f16_e32 v52, -0.5, v22
	;; [unrolled: 1-line block ×6, first 2 shown]
	v_sub_f16_e32 v61, v80, v82
	v_sub_f16_e32 v67, v84, v86
	;; [unrolled: 1-line block ×4, first 2 shown]
	v_add_f16_e32 v38, v38, v74
	v_add_f16_e32 v24, v41, v24
	v_fmac_f16_e32 v53, -0.5, v23
	v_fmac_f16_e32 v55, -0.5, v33
	;; [unrolled: 1-line block ×4, first 2 shown]
	v_fmamk_f16 v36, v40, 0xbaee, v32
	v_fmamk_f16 v39, v42, 0x3aee, v47
	v_fmac_f16_e32 v32, 0x3aee, v40
	v_fmac_f16_e32 v47, 0xbaee, v42
	v_add_f16_e32 v18, v43, v78
	v_add_f16_e32 v25, v51, v25
	;; [unrolled: 1-line block ×5, first 2 shown]
	v_fmamk_f16 v40, v46, 0xbaee, v30
	v_fmac_f16_e32 v30, 0x3aee, v46
	v_fmamk_f16 v41, v54, 0x3aee, v52
	v_fmamk_f16 v42, v59, 0xbaee, v29
	v_fmac_f16_e32 v29, 0x3aee, v59
	v_fmamk_f16 v44, v65, 0xbaee, v27
	v_fmac_f16_e32 v27, 0x3aee, v65
	v_fmamk_f16 v51, v70, 0xbaee, v14
	v_fmamk_f16 v56, v76, 0xbaee, v28
	v_fmac_f16_e32 v28, 0x3aee, v76
	v_add_f16_e32 v26, v60, v26
	v_add_f16_e32 v23, v62, v86
	;; [unrolled: 1-line block ×5, first 2 shown]
	v_fmac_f16_e32 v52, 0xbaee, v54
	v_fmamk_f16 v43, v61, 0x3aee, v53
	v_fmac_f16_e32 v53, 0xbaee, v61
	v_fmamk_f16 v46, v67, 0x3aee, v55
	v_fmac_f16_e32 v55, 0xbaee, v67
	v_fmac_f16_e32 v14, 0x3aee, v70
	v_fmamk_f16 v54, v72, 0x3aee, v57
	v_fmac_f16_e32 v57, 0xbaee, v72
	v_fmamk_f16 v58, v79, 0x3aee, v63
	v_fmac_f16_e32 v63, 0xbaee, v79
	ds_write_b16 v15, v38
	ds_write_b16 v15, v36 offset:66
	ds_write_b16 v15, v32 offset:132
	ds_write_b16 v17, v18
	ds_write_b16 v17, v40 offset:66
	ds_write_b16 v17, v30 offset:132
	;; [unrolled: 3-line block ×6, first 2 shown]
	s_waitcnt lgkmcnt(0)
	s_barrier
	buffer_gl0_inv
	ds_read_u16 v27, v0 offset:2772
	ds_read_u16 v28, v0 offset:2970
	ds_read_u16 v29, v0
	ds_read_u16 v30, v0 offset:198
	ds_read_u16 v32, v0 offset:396
	;; [unrolled: 1-line block ×15, first 2 shown]
	s_waitcnt lgkmcnt(0)
	s_barrier
	buffer_gl0_inv
	ds_write_b16 v15, v24
	ds_write_b16 v15, v39 offset:66
	ds_write_b16 v15, v47 offset:132
	ds_write_b16 v17, v25
	ds_write_b16 v17, v41 offset:66
	ds_write_b16 v17, v52 offset:132
	;; [unrolled: 3-line block ×6, first 2 shown]
	v_sub_nc_u16 v17, v13, v50
	v_and_b32_e32 v26, 0xffff, v48
	v_and_b32_e32 v31, 0xffff, v12
	v_lshlrev_b32_e32 v16, 3, v45
	s_waitcnt lgkmcnt(0)
	v_and_b32_e32 v35, 0xffff, v17
	v_lshlrev_b32_e32 v18, 3, v26
	v_lshlrev_b32_e32 v19, 3, v31
	s_barrier
	buffer_gl0_inv
	v_lshlrev_b32_e32 v20, 3, v35
	s_clause 0x4
	global_load_dwordx2 v[14:15], v[9:10], off offset:352
	global_load_dwordx2 v[12:13], v16, s[12:13] offset:352
	global_load_dwordx2 v[16:17], v18, s[12:13] offset:352
	;; [unrolled: 1-line block ×4, first 2 shown]
	v_lshlrev_b32_e32 v22, 1, v4
	v_lshlrev_b32_e32 v24, 1, v11
	v_lshl_add_u32 v4, v45, 1, 0
	v_lshl_add_u32 v11, v26, 1, 0
	;; [unrolled: 1-line block ×4, first 2 shown]
	ds_read_u16 v35, v0 offset:1188
	ds_read_u16 v37, v0 offset:1386
	;; [unrolled: 1-line block ×7, first 2 shown]
	ds_read_u16 v47, v0
	ds_read_u16 v48, v0 offset:198
	ds_read_u16 v49, v0 offset:396
	;; [unrolled: 1-line block ×10, first 2 shown]
	v_mov_b32_e32 v23, v8
	v_mov_b32_e32 v25, v8
	s_waitcnt vmcnt(0) lgkmcnt(0)
	s_barrier
	buffer_gl0_inv
	v_lshlrev_b64 v[22:23], 2, v[22:23]
	v_lshlrev_b64 v[24:25], 2, v[24:25]
	v_add_co_u32 v22, s0, s12, v22
	v_add_co_ci_u32_e64 v23, s0, s13, v23, s0
	v_mul_f16_sdwa v64, v35, v14 dst_sel:DWORD dst_unused:UNUSED_PAD src0_sel:DWORD src1_sel:WORD_1
	v_mul_f16_sdwa v65, v44, v14 dst_sel:DWORD dst_unused:UNUSED_PAD src0_sel:DWORD src1_sel:WORD_1
	v_mul_f16_sdwa v66, v41, v15 dst_sel:DWORD dst_unused:UNUSED_PAD src0_sel:DWORD src1_sel:WORD_1
	v_mul_f16_sdwa v67, v59, v15 dst_sel:DWORD dst_unused:UNUSED_PAD src0_sel:DWORD src1_sel:WORD_1
	v_mul_f16_sdwa v68, v37, v14 dst_sel:DWORD dst_unused:UNUSED_PAD src0_sel:DWORD src1_sel:WORD_1
	v_mul_f16_sdwa v69, v42, v14 dst_sel:DWORD dst_unused:UNUSED_PAD src0_sel:DWORD src1_sel:WORD_1
	v_mul_f16_sdwa v70, v43, v15 dst_sel:DWORD dst_unused:UNUSED_PAD src0_sel:DWORD src1_sel:WORD_1
	v_mul_f16_sdwa v71, v56, v15 dst_sel:DWORD dst_unused:UNUSED_PAD src0_sel:DWORD src1_sel:WORD_1
	v_mul_f16_sdwa v72, v39, v12 dst_sel:DWORD dst_unused:UNUSED_PAD src0_sel:DWORD src1_sel:WORD_1
	v_mul_f16_sdwa v74, v45, v13 dst_sel:DWORD dst_unused:UNUSED_PAD src0_sel:DWORD src1_sel:WORD_1
	v_mul_f16_sdwa v76, v53, v16 dst_sel:DWORD dst_unused:UNUSED_PAD src0_sel:DWORD src1_sel:WORD_1
	v_mul_f16_sdwa v78, v46, v17 dst_sel:DWORD dst_unused:UNUSED_PAD src0_sel:DWORD src1_sel:WORD_1
	v_mul_f16_sdwa v80, v54, v18 dst_sel:DWORD dst_unused:UNUSED_PAD src0_sel:DWORD src1_sel:WORD_1
	v_mul_f16_sdwa v82, v58, v19 dst_sel:DWORD dst_unused:UNUSED_PAD src0_sel:DWORD src1_sel:WORD_1
	v_mul_f16_sdwa v84, v57, v20 dst_sel:DWORD dst_unused:UNUSED_PAD src0_sel:DWORD src1_sel:WORD_1
	v_mul_f16_sdwa v86, v63, v21 dst_sel:DWORD dst_unused:UNUSED_PAD src0_sel:DWORD src1_sel:WORD_1
	v_mul_f16_sdwa v73, v36, v12 dst_sel:DWORD dst_unused:UNUSED_PAD src0_sel:DWORD src1_sel:WORD_1
	v_mul_f16_sdwa v75, v27, v13 dst_sel:DWORD dst_unused:UNUSED_PAD src0_sel:DWORD src1_sel:WORD_1
	v_mul_f16_sdwa v77, v38, v16 dst_sel:DWORD dst_unused:UNUSED_PAD src0_sel:DWORD src1_sel:WORD_1
	v_mul_f16_sdwa v79, v28, v17 dst_sel:DWORD dst_unused:UNUSED_PAD src0_sel:DWORD src1_sel:WORD_1
	v_mul_f16_sdwa v81, v40, v18 dst_sel:DWORD dst_unused:UNUSED_PAD src0_sel:DWORD src1_sel:WORD_1
	v_mul_f16_sdwa v83, v61, v19 dst_sel:DWORD dst_unused:UNUSED_PAD src0_sel:DWORD src1_sel:WORD_1
	v_mul_f16_sdwa v85, v60, v20 dst_sel:DWORD dst_unused:UNUSED_PAD src0_sel:DWORD src1_sel:WORD_1
	v_mul_f16_sdwa v87, v62, v21 dst_sel:DWORD dst_unused:UNUSED_PAD src0_sel:DWORD src1_sel:WORD_1
	v_fmac_f16_e32 v64, v44, v14
	v_fma_f16 v35, v35, v14, -v65
	v_fmac_f16_e32 v66, v59, v15
	v_fma_f16 v41, v41, v15, -v67
	;; [unrolled: 2-line block ×4, first 2 shown]
	v_fmac_f16_e32 v72, v36, v12
	v_fmac_f16_e32 v74, v27, v13
	;; [unrolled: 1-line block ×8, first 2 shown]
	v_fma_f16 v12, v39, v12, -v73
	v_fma_f16 v13, v45, v13, -v75
	;; [unrolled: 1-line block ×8, first 2 shown]
	v_add_f16_e32 v28, v64, v66
	v_sub_f16_e32 v36, v35, v41
	v_add_f16_e32 v37, v47, v35
	v_add_f16_e32 v35, v35, v41
	;; [unrolled: 1-line block ×3, first 2 shown]
	v_sub_f16_e32 v42, v14, v15
	v_add_f16_e32 v43, v48, v14
	v_add_f16_e32 v14, v14, v15
	;; [unrolled: 1-line block ×7, first 2 shown]
	v_sub_f16_e32 v38, v64, v66
	v_add_f16_e32 v45, v32, v72
	v_sub_f16_e32 v53, v12, v13
	v_add_f16_e32 v54, v49, v12
	v_add_f16_e32 v12, v12, v13
	v_sub_f16_e32 v56, v72, v74
	v_sub_f16_e32 v59, v16, v17
	v_add_f16_e32 v60, v50, v16
	v_add_f16_e32 v16, v16, v17
	v_sub_f16_e32 v64, v18, v19
	v_add_f16_e32 v65, v52, v18
	v_add_f16_e32 v18, v18, v19
	;; [unrolled: 3-line block ×3, first 2 shown]
	v_add_f16_e32 v39, v30, v68
	v_fmac_f16_e32 v29, -0.5, v28
	v_fmac_f16_e32 v47, -0.5, v35
	v_sub_f16_e32 v44, v68, v70
	v_add_f16_e32 v57, v33, v76
	v_add_f16_e32 v62, v34, v80
	;; [unrolled: 1-line block ×3, first 2 shown]
	v_fmac_f16_e32 v30, -0.5, v40
	v_fmac_f16_e32 v48, -0.5, v14
	v_fmac_f16_e32 v32, -0.5, v46
	v_fmac_f16_e32 v33, -0.5, v58
	v_fmac_f16_e32 v34, -0.5, v63
	v_fmac_f16_e32 v51, -0.5, v69
	v_sub_f16_e32 v61, v76, v78
	v_sub_f16_e32 v67, v80, v82
	;; [unrolled: 1-line block ×3, first 2 shown]
	v_add_f16_e32 v27, v27, v66
	v_add_f16_e32 v28, v37, v41
	v_fmac_f16_e32 v49, -0.5, v12
	v_fmac_f16_e32 v50, -0.5, v16
	;; [unrolled: 1-line block ×4, first 2 shown]
	v_add_f16_e32 v35, v39, v70
	v_fmamk_f16 v20, v36, 0xbaee, v29
	v_fmac_f16_e32 v29, 0x3aee, v36
	v_fmamk_f16 v36, v38, 0x3aee, v47
	v_fmac_f16_e32 v47, 0xbaee, v38
	v_add_f16_e32 v15, v43, v15
	v_add_f16_e32 v14, v45, v74
	;; [unrolled: 1-line block ×4, first 2 shown]
	v_fmamk_f16 v37, v42, 0xbaee, v30
	v_fmac_f16_e32 v30, 0x3aee, v42
	v_fmamk_f16 v38, v44, 0x3aee, v48
	v_fmamk_f16 v39, v53, 0xbaee, v32
	v_fmac_f16_e32 v32, 0x3aee, v53
	v_fmamk_f16 v41, v59, 0xbaee, v33
	v_fmac_f16_e32 v33, 0x3aee, v59
	;; [unrolled: 2-line block ×4, first 2 shown]
	v_add_f16_e32 v13, v54, v13
	v_add_f16_e32 v12, v57, v78
	;; [unrolled: 1-line block ×5, first 2 shown]
	v_fmac_f16_e32 v48, 0xbaee, v44
	v_fmamk_f16 v40, v56, 0x3aee, v49
	v_fmac_f16_e32 v49, 0xbaee, v56
	v_fmamk_f16 v42, v61, 0x3aee, v50
	;; [unrolled: 2-line block ×4, first 2 shown]
	v_fmac_f16_e32 v55, 0xbaee, v73
	ds_write_b16 v0, v27
	ds_write_b16 v0, v35 offset:594
	ds_write_b16 v0, v20 offset:198
	;; [unrolled: 1-line block ×17, first 2 shown]
	s_waitcnt lgkmcnt(0)
	s_barrier
	buffer_gl0_inv
	ds_read_u16 v16, v0 offset:2772
	ds_read_u16 v18, v0 offset:2970
	ds_read_u16 v20, v0
	ds_read_u16 v29, v0 offset:198
	ds_read_u16 v30, v0 offset:396
	;; [unrolled: 1-line block ×15, first 2 shown]
	s_waitcnt lgkmcnt(0)
	s_barrier
	buffer_gl0_inv
	ds_write_b16 v0, v28
	ds_write_b16 v0, v36 offset:198
	ds_write_b16 v0, v47 offset:396
	;; [unrolled: 1-line block ×17, first 2 shown]
	v_add_co_u32 v11, s0, s12, v24
	v_add_co_ci_u32_e64 v12, s0, s13, v25, s0
	s_waitcnt lgkmcnt(0)
	s_barrier
	buffer_gl0_inv
	s_clause 0x2
	global_load_dwordx2 v[9:10], v[9:10], off offset:1144
	global_load_dwordx2 v[13:14], v[22:23], off offset:1144
	;; [unrolled: 1-line block ×3, first 2 shown]
	v_add_nc_u32_e32 v27, 0, v7
	ds_read_u16 v4, v0 offset:1188
	ds_read_u16 v7, v0 offset:1386
	;; [unrolled: 1-line block ×7, first 2 shown]
	ds_read_u16 v28, v0
	ds_read_u16 v31, v0 offset:198
	ds_read_u16 v36, v0 offset:396
	;; [unrolled: 1-line block ×10, first 2 shown]
	s_waitcnt vmcnt(0) lgkmcnt(0)
	s_barrier
	buffer_gl0_inv
	v_mul_f16_sdwa v46, v4, v9 dst_sel:DWORD dst_unused:UNUSED_PAD src0_sel:DWORD src1_sel:WORD_1
	v_mul_f16_sdwa v48, v17, v10 dst_sel:DWORD dst_unused:UNUSED_PAD src0_sel:DWORD src1_sel:WORD_1
	;; [unrolled: 1-line block ×24, first 2 shown]
	v_fmac_f16_e32 v46, v41, v9
	v_fmac_f16_e32 v48, v51, v10
	;; [unrolled: 1-line block ×12, first 2 shown]
	v_fma_f16 v4, v4, v9, -v47
	v_fma_f16 v17, v17, v10, -v49
	;; [unrolled: 1-line block ×12, first 2 shown]
	v_add_f16_e32 v21, v46, v48
	v_add_f16_e32 v26, v50, v55
	;; [unrolled: 1-line block ×7, first 2 shown]
	v_sub_f16_e32 v22, v4, v17
	v_add_f16_e32 v23, v28, v4
	v_add_f16_e32 v4, v4, v17
	v_add_f16_e32 v25, v29, v50
	v_sub_f16_e32 v34, v7, v19
	v_add_f16_e32 v35, v31, v7
	v_add_f16_e32 v7, v7, v19
	v_add_f16_e32 v39, v30, v58
	;; [unrolled: 4-line block ×3, first 2 shown]
	v_sub_f16_e32 v37, v50, v55
	v_sub_f16_e32 v50, v9, v10
	v_add_f16_e32 v51, v38, v9
	v_add_f16_e32 v9, v9, v10
	v_sub_f16_e32 v52, v62, v64
	v_add_f16_e32 v53, v33, v66
	v_sub_f16_e32 v56, v13, v14
	v_add_f16_e32 v57, v40, v13
	v_add_f16_e32 v13, v13, v14
	;; [unrolled: 1-line block ×3, first 2 shown]
	v_sub_f16_e32 v62, v11, v12
	v_add_f16_e32 v63, v42, v11
	v_add_f16_e32 v11, v11, v12
	v_fmac_f16_e32 v20, -0.5, v21
	v_fmac_f16_e32 v29, -0.5, v26
	;; [unrolled: 1-line block ×6, first 2 shown]
	v_sub_f16_e32 v24, v46, v48
	v_add_f16_e32 v18, v18, v48
	v_fmac_f16_e32 v28, -0.5, v4
	v_add_f16_e32 v4, v25, v55
	v_fmac_f16_e32 v31, -0.5, v7
	;; [unrolled: 2-line block ×3, first 2 shown]
	v_add_f16_e32 v15, v47, v64
	v_add_f16_e32 v48, v23, v17
	;; [unrolled: 1-line block ×4, first 2 shown]
	v_fmac_f16_e32 v38, -0.5, v9
	v_add_f16_e32 v9, v53, v68
	v_add_f16_e32 v45, v57, v14
	v_fmac_f16_e32 v40, -0.5, v13
	v_add_f16_e32 v10, v59, v72
	v_add_f16_e32 v47, v63, v12
	v_fmac_f16_e32 v42, -0.5, v11
	v_fmamk_f16 v11, v22, 0xbaee, v20
	v_fmac_f16_e32 v20, 0x3aee, v22
	v_fmamk_f16 v12, v34, 0xbaee, v29
	v_fmamk_f16 v13, v44, 0xbaee, v30
	;; [unrolled: 1-line block ×5, first 2 shown]
	v_add_f16_e32 v35, v35, v19
	v_fmamk_f16 v49, v24, 0x3aee, v28
	v_fmac_f16_e32 v28, 0xbaee, v24
	v_fmac_f16_e32 v29, 0x3aee, v34
	;; [unrolled: 1-line block ×6, first 2 shown]
	ds_write_b16 v0, v18
	ds_write_b16 v0, v4 offset:198
	ds_write_b16 v0, v7 offset:396
	;; [unrolled: 1-line block ×17, first 2 shown]
	s_waitcnt lgkmcnt(0)
	s_barrier
	buffer_gl0_inv
	ds_read_u16 v9, v0
	ds_read_u16 v10, v0 offset:198
	ds_read_u16 v11, v0 offset:396
	;; [unrolled: 1-line block ×17, first 2 shown]
	v_sub_f16_e32 v46, v58, v60
	v_sub_f16_e32 v58, v66, v68
	;; [unrolled: 1-line block ×3, first 2 shown]
	v_fmamk_f16 v34, v37, 0x3aee, v31
	v_fmac_f16_e32 v31, 0xbaee, v37
	v_fmamk_f16 v37, v46, 0x3aee, v36
	v_fmac_f16_e32 v36, 0xbaee, v46
	;; [unrolled: 2-line block ×5, first 2 shown]
	s_waitcnt lgkmcnt(0)
	s_barrier
	buffer_gl0_inv
	ds_write_b16 v0, v48
	ds_write_b16 v0, v49 offset:594
	ds_write_b16 v0, v28 offset:1188
	;; [unrolled: 1-line block ×17, first 2 shown]
	s_waitcnt lgkmcnt(0)
	s_barrier
	buffer_gl0_inv
	s_and_saveexec_b32 s0, vcc_lo
	s_cbranch_execz .LBB0_21
; %bb.20:
	v_add_nc_u32_e32 v7, 0x318, v3
	v_add_nc_u32_e32 v28, 0x2b5, v3
	v_mov_b32_e32 v29, v8
	v_add_nc_u32_e32 v32, 0x252, v3
	v_mov_b32_e32 v33, v8
	v_lshlrev_b64 v[30:31], 2, v[7:8]
	v_mov_b32_e32 v4, v8
	v_lshlrev_b64 v[28:29], 2, v[28:29]
	v_mul_lo_u32 v6, s2, v6
	v_add_co_u32 v7, vcc_lo, s12, v30
	v_add_co_ci_u32_e32 v34, vcc_lo, s13, v31, vcc_lo
	v_lshlrev_b64 v[30:31], 2, v[32:33]
	v_add_co_u32 v32, vcc_lo, 0x800, v7
	v_add_co_ci_u32_e32 v33, vcc_lo, 0, v34, vcc_lo
	v_add_co_u32 v7, vcc_lo, s12, v28
	v_add_co_ci_u32_e32 v29, vcc_lo, s13, v29, vcc_lo
	global_load_dword v55, v[32:33], off offset:1472
	v_add_co_u32 v28, vcc_lo, 0x800, v7
	v_lshlrev_b64 v[32:33], 2, v[3:4]
	v_add_co_ci_u32_e32 v29, vcc_lo, 0, v29, vcc_lo
	v_add_co_u32 v4, vcc_lo, s12, v30
	v_add_co_ci_u32_e32 v7, vcc_lo, s13, v31, vcc_lo
	v_add_co_u32 v34, vcc_lo, s12, v32
	;; [unrolled: 2-line block ×5, first 2 shown]
	v_add_co_ci_u32_e32 v35, vcc_lo, 0, v35, vcc_lo
	s_clause 0x7
	global_load_dword v56, v[28:29], off offset:1472
	global_load_dword v57, v[30:31], off offset:1472
	;; [unrolled: 1-line block ×8, first 2 shown]
	ds_read_u16 v64, v27 offset:1584
	ds_read_u16 v65, v27 offset:1386
	;; [unrolled: 1-line block ×17, first 2 shown]
	ds_read_u16 v81, v0
	v_lshlrev_b64 v[0:1], 2, v[1:2]
	v_add_nc_u32_e32 v2, 0x63, v3
	v_mul_lo_u32 v7, s3, v5
	v_mad_u64_u32 v[4:5], null, s2, v5, 0
	v_mul_hi_u32 v27, 0x931b4b91, v3
	v_add_nc_u32_e32 v33, 0x2b5, v3
	v_mul_hi_u32 v35, 0x931b4b91, v2
	v_add_nc_u32_e32 v28, 0xc6, v3
	v_add_nc_u32_e32 v29, 0x129, v3
	;; [unrolled: 1-line block ×3, first 2 shown]
	v_add3_u32 v5, v5, v6, v7
	v_mul_hi_u32 v7, 0x931b4b91, v33
	v_lshrrev_b32_e32 v27, 9, v27
	v_mul_hi_u32 v36, 0x931b4b91, v28
	v_lshrrev_b32_e32 v35, 9, v35
	v_lshlrev_b64 v[4:5], 2, v[4:5]
	v_add_nc_u32_e32 v31, 0x1ef, v3
	v_mul_u32_u24_e32 v27, 0x37b, v27
	v_add_nc_u32_e32 v32, 0x252, v3
	v_lshrrev_b32_e32 v49, 9, v7
	v_mul_u32_u24_e32 v7, 0x37b, v35
	v_add_nc_u32_e32 v34, 0x318, v3
	v_lshrrev_b32_e32 v36, 9, v36
	v_sub_nc_u32_e32 v3, v3, v27
	v_add_co_u32 v4, vcc_lo, s10, v4
	v_sub_nc_u32_e32 v2, v2, v7
	v_mul_hi_u32 v37, 0x931b4b91, v29
	v_mul_hi_u32 v38, 0x931b4b91, v30
	v_add_co_ci_u32_e32 v5, vcc_lo, s11, v5, vcc_lo
	v_mul_u32_u24_e32 v27, 0x37b, v36
	v_lshlrev_b32_e32 v3, 2, v3
	v_add_co_u32 v82, vcc_lo, v4, v0
	v_mad_u32_u24 v7, 0x6f6, v35, v2
	v_mul_hi_u32 v39, 0x931b4b91, v31
	v_mul_hi_u32 v6, 0x931b4b91, v32
	;; [unrolled: 1-line block ×3, first 2 shown]
	v_add_co_ci_u32_e32 v83, vcc_lo, v5, v1, vcc_lo
	v_lshrrev_b32_e32 v37, 9, v37
	v_lshrrev_b32_e32 v38, 9, v38
	v_sub_nc_u32_e32 v46, v28, v27
	v_add_co_u32 v0, vcc_lo, v82, v3
	v_lshlrev_b64 v[2:3], 2, v[7:8]
	v_add_nc_u32_e32 v7, 0x37b, v7
	v_lshrrev_b32_e32 v41, 9, v39
	v_lshrrev_b32_e32 v6, 9, v6
	;; [unrolled: 1-line block ×3, first 2 shown]
	v_mul_u32_u24_e32 v39, 0x37b, v37
	v_mul_u32_u24_e32 v40, 0x37b, v38
	v_lshlrev_b64 v[27:28], 2, v[7:8]
	v_mad_u32_u24 v7, 0x6f6, v36, v46
	v_mul_u32_u24_e32 v42, 0x37b, v41
	v_mul_u32_u24_e32 v43, 0x37b, v6
	v_sub_nc_u32_e32 v39, v29, v39
	v_sub_nc_u32_e32 v40, v30, v40
	v_lshlrev_b64 v[29:30], 2, v[7:8]
	v_add_nc_u32_e32 v7, 0x37b, v7
	v_mul_u32_u24_e32 v44, 0x37b, v49
	v_mul_u32_u24_e32 v45, 0x37b, v53
	v_sub_nc_u32_e32 v42, v31, v42
	v_sub_nc_u32_e32 v47, v32, v43
	v_lshlrev_b64 v[31:32], 2, v[7:8]
	v_mad_u32_u24 v7, 0x6f6, v37, v39
	v_sub_nc_u32_e32 v50, v33, v44
	v_sub_nc_u32_e32 v54, v34, v45
	v_add_co_ci_u32_e32 v1, vcc_lo, 0, v83, vcc_lo
	v_lshlrev_b64 v[33:34], 2, v[7:8]
	v_add_nc_u32_e32 v7, 0x37b, v7
	v_add_co_u32 v4, vcc_lo, 0x800, v0
	v_add_co_ci_u32_e32 v5, vcc_lo, 0, v1, vcc_lo
	v_lshlrev_b64 v[35:36], 2, v[7:8]
	v_mad_u32_u24 v7, 0x6f6, v38, v40
	v_add_co_u32 v2, vcc_lo, v82, v2
	v_add_co_ci_u32_e32 v3, vcc_lo, v83, v3, vcc_lo
	v_lshlrev_b64 v[37:38], 2, v[7:8]
	v_add_nc_u32_e32 v7, 0x37b, v7
	v_add_co_u32 v27, vcc_lo, v82, v27
	v_add_co_ci_u32_e32 v28, vcc_lo, v83, v28, vcc_lo
	v_lshlrev_b64 v[39:40], 2, v[7:8]
	v_mad_u32_u24 v7, 0x6f6, v41, v42
	v_add_co_u32 v29, vcc_lo, v82, v29
	;; [unrolled: 8-line block ×3, first 2 shown]
	v_add_co_ci_u32_e32 v34, vcc_lo, v83, v34, vcc_lo
	v_lshlrev_b64 v[45:46], 2, v[7:8]
	v_add_nc_u32_e32 v7, 0x37b, v7
	v_add_co_u32 v35, vcc_lo, v82, v35
	v_add_co_ci_u32_e32 v36, vcc_lo, v83, v36, vcc_lo
	v_add_co_u32 v37, vcc_lo, v82, v37
	v_lshlrev_b64 v[47:48], 2, v[7:8]
	v_mad_u32_u24 v7, 0x6f6, v49, v50
	v_add_co_ci_u32_e32 v38, vcc_lo, v83, v38, vcc_lo
	v_add_co_u32 v39, vcc_lo, v82, v39
	v_add_co_ci_u32_e32 v40, vcc_lo, v83, v40, vcc_lo
	v_add_co_u32 v41, vcc_lo, v82, v41
	v_lshlrev_b64 v[49:50], 2, v[7:8]
	v_add_nc_u32_e32 v7, 0x37b, v7
	v_add_co_ci_u32_e32 v42, vcc_lo, v83, v42, vcc_lo
	v_add_co_u32 v43, vcc_lo, v82, v43
	v_add_co_ci_u32_e32 v44, vcc_lo, v83, v44, vcc_lo
	v_lshlrev_b64 v[51:52], 2, v[7:8]
	v_mad_u32_u24 v7, 0x6f6, v53, v54
	v_add_co_u32 v45, vcc_lo, v82, v45
	v_add_co_ci_u32_e32 v46, vcc_lo, v83, v46, vcc_lo
	v_add_co_u32 v47, vcc_lo, v82, v47
	v_lshlrev_b64 v[53:54], 2, v[7:8]
	v_add_nc_u32_e32 v7, 0x37b, v7
	v_add_co_ci_u32_e32 v48, vcc_lo, v83, v48, vcc_lo
	v_add_co_u32 v49, vcc_lo, v82, v49
	v_add_co_ci_u32_e32 v50, vcc_lo, v83, v50, vcc_lo
	v_add_co_u32 v51, vcc_lo, v82, v51
	v_lshlrev_b64 v[6:7], 2, v[7:8]
	v_add_co_ci_u32_e32 v52, vcc_lo, v83, v52, vcc_lo
	v_add_co_u32 v53, vcc_lo, v82, v53
	v_add_co_ci_u32_e32 v54, vcc_lo, v83, v54, vcc_lo
	v_add_co_u32 v6, vcc_lo, v82, v6
	v_add_co_ci_u32_e32 v7, vcc_lo, v83, v7, vcc_lo
	s_waitcnt vmcnt(8) lgkmcnt(15)
	v_mul_f16_sdwa v8, v55, v66 dst_sel:DWORD dst_unused:UNUSED_PAD src0_sel:WORD_1 src1_sel:DWORD
	v_mul_f16_sdwa v82, v26, v55 dst_sel:DWORD dst_unused:UNUSED_PAD src0_sel:DWORD src1_sel:WORD_1
	v_fmac_f16_e32 v8, v26, v55
	v_fma_f16 v55, v55, v66, -v82
	v_sub_f16_e32 v8, v17, v8
	v_fma_f16 v17, v17, 2.0, -v8
	s_waitcnt vmcnt(7) lgkmcnt(14)
	v_mul_f16_sdwa v83, v56, v67 dst_sel:DWORD dst_unused:UNUSED_PAD src0_sel:WORD_1 src1_sel:DWORD
	v_mul_f16_sdwa v84, v25, v56 dst_sel:DWORD dst_unused:UNUSED_PAD src0_sel:DWORD src1_sel:WORD_1
	s_waitcnt vmcnt(6) lgkmcnt(13)
	v_mul_f16_sdwa v85, v57, v68 dst_sel:DWORD dst_unused:UNUSED_PAD src0_sel:WORD_1 src1_sel:DWORD
	v_mul_f16_sdwa v86, v24, v57 dst_sel:DWORD dst_unused:UNUSED_PAD src0_sel:DWORD src1_sel:WORD_1
	s_waitcnt vmcnt(5) lgkmcnt(12)
	v_mul_f16_sdwa v87, v58, v69 dst_sel:DWORD dst_unused:UNUSED_PAD src0_sel:WORD_1 src1_sel:DWORD
	v_fmac_f16_e32 v83, v25, v56
	v_fma_f16 v56, v56, v67, -v84
	s_waitcnt vmcnt(4) lgkmcnt(7)
	v_mul_f16_sdwa v84, v59, v74 dst_sel:DWORD dst_unused:UNUSED_PAD src0_sel:WORD_1 src1_sel:DWORD
	v_fmac_f16_e32 v85, v24, v57
	v_mul_f16_sdwa v24, v18, v59 dst_sel:DWORD dst_unused:UNUSED_PAD src0_sel:DWORD src1_sel:WORD_1
	s_waitcnt vmcnt(0)
	v_mul_f16_sdwa v25, v63, v73 dst_sel:DWORD dst_unused:UNUSED_PAD src0_sel:WORD_1 src1_sel:DWORD
	v_mul_f16_sdwa v67, v19, v63 dst_sel:DWORD dst_unused:UNUSED_PAD src0_sel:DWORD src1_sel:WORD_1
	v_mul_f16_sdwa v66, v62, v72 dst_sel:DWORD dst_unused:UNUSED_PAD src0_sel:WORD_1 src1_sel:DWORD
	v_mul_f16_sdwa v82, v20, v62 dst_sel:DWORD dst_unused:UNUSED_PAD src0_sel:DWORD src1_sel:WORD_1
	v_mul_f16_sdwa v88, v23, v58 dst_sel:DWORD dst_unused:UNUSED_PAD src0_sel:DWORD src1_sel:WORD_1
	v_mul_f16_sdwa v89, v60, v70 dst_sel:DWORD dst_unused:UNUSED_PAD src0_sel:WORD_1 src1_sel:DWORD
	v_mul_f16_sdwa v90, v22, v60 dst_sel:DWORD dst_unused:UNUSED_PAD src0_sel:DWORD src1_sel:WORD_1
	v_mul_f16_sdwa v91, v61, v71 dst_sel:DWORD dst_unused:UNUSED_PAD src0_sel:WORD_1 src1_sel:DWORD
	v_mul_f16_sdwa v26, v21, v61 dst_sel:DWORD dst_unused:UNUSED_PAD src0_sel:DWORD src1_sel:WORD_1
	v_fmac_f16_e32 v84, v18, v59
	v_fma_f16 v18, v59, v74, -v24
	v_fmac_f16_e32 v25, v19, v63
	v_fma_f16 v19, v63, v73, -v67
	;; [unrolled: 2-line block ×3, first 2 shown]
	v_fma_f16 v57, v57, v68, -v86
	v_fmac_f16_e32 v87, v23, v58
	v_fma_f16 v23, v58, v69, -v88
	v_fmac_f16_e32 v89, v22, v60
	;; [unrolled: 2-line block ×3, first 2 shown]
	v_fma_f16 v21, v61, v71, -v26
	v_sub_f16_e32 v62, v9, v84
	s_waitcnt lgkmcnt(0)
	v_sub_f16_e32 v18, v81, v18
	v_sub_f16_e32 v25, v10, v25
	;; [unrolled: 1-line block ×16, first 2 shown]
	v_fma_f16 v9, v9, 2.0, -v62
	v_fma_f16 v71, v81, 2.0, -v18
	;; [unrolled: 1-line block ×4, first 2 shown]
	v_pack_b32_f16 v18, v62, v18
	v_fma_f16 v11, v11, 2.0, -v61
	v_fma_f16 v69, v79, 2.0, -v20
	;; [unrolled: 1-line block ×13, first 2 shown]
	v_pack_b32_f16 v9, v9, v71
	global_store_dword v[4:5], v18, off offset:1516
	v_pack_b32_f16 v4, v10, v70
	v_pack_b32_f16 v19, v25, v19
	;; [unrolled: 1-line block ×16, first 2 shown]
	global_store_dword v[0:1], v9, off
	global_store_dword v[2:3], v4, off
	;; [unrolled: 1-line block ×17, first 2 shown]
.LBB0_21:
	s_endpgm
	.section	.rodata,"a",@progbits
	.p2align	6, 0x0
	.amdhsa_kernel fft_rtc_back_len1782_factors_11_3_3_3_3_2_wgs_99_tpt_99_halfLds_half_op_CI_CI_unitstride_sbrr_dirReg
		.amdhsa_group_segment_fixed_size 0
		.amdhsa_private_segment_fixed_size 0
		.amdhsa_kernarg_size 104
		.amdhsa_user_sgpr_count 6
		.amdhsa_user_sgpr_private_segment_buffer 1
		.amdhsa_user_sgpr_dispatch_ptr 0
		.amdhsa_user_sgpr_queue_ptr 0
		.amdhsa_user_sgpr_kernarg_segment_ptr 1
		.amdhsa_user_sgpr_dispatch_id 0
		.amdhsa_user_sgpr_flat_scratch_init 0
		.amdhsa_user_sgpr_private_segment_size 0
		.amdhsa_wavefront_size32 1
		.amdhsa_uses_dynamic_stack 0
		.amdhsa_system_sgpr_private_segment_wavefront_offset 0
		.amdhsa_system_sgpr_workgroup_id_x 1
		.amdhsa_system_sgpr_workgroup_id_y 0
		.amdhsa_system_sgpr_workgroup_id_z 0
		.amdhsa_system_sgpr_workgroup_info 0
		.amdhsa_system_vgpr_workitem_id 0
		.amdhsa_next_free_vgpr 95
		.amdhsa_next_free_sgpr 27
		.amdhsa_reserve_vcc 1
		.amdhsa_reserve_flat_scratch 0
		.amdhsa_float_round_mode_32 0
		.amdhsa_float_round_mode_16_64 0
		.amdhsa_float_denorm_mode_32 3
		.amdhsa_float_denorm_mode_16_64 3
		.amdhsa_dx10_clamp 1
		.amdhsa_ieee_mode 1
		.amdhsa_fp16_overflow 0
		.amdhsa_workgroup_processor_mode 1
		.amdhsa_memory_ordered 1
		.amdhsa_forward_progress 0
		.amdhsa_shared_vgpr_count 0
		.amdhsa_exception_fp_ieee_invalid_op 0
		.amdhsa_exception_fp_denorm_src 0
		.amdhsa_exception_fp_ieee_div_zero 0
		.amdhsa_exception_fp_ieee_overflow 0
		.amdhsa_exception_fp_ieee_underflow 0
		.amdhsa_exception_fp_ieee_inexact 0
		.amdhsa_exception_int_div_zero 0
	.end_amdhsa_kernel
	.text
.Lfunc_end0:
	.size	fft_rtc_back_len1782_factors_11_3_3_3_3_2_wgs_99_tpt_99_halfLds_half_op_CI_CI_unitstride_sbrr_dirReg, .Lfunc_end0-fft_rtc_back_len1782_factors_11_3_3_3_3_2_wgs_99_tpt_99_halfLds_half_op_CI_CI_unitstride_sbrr_dirReg
                                        ; -- End function
	.section	.AMDGPU.csdata,"",@progbits
; Kernel info:
; codeLenInByte = 15548
; NumSgprs: 29
; NumVgprs: 95
; ScratchSize: 0
; MemoryBound: 0
; FloatMode: 240
; IeeeMode: 1
; LDSByteSize: 0 bytes/workgroup (compile time only)
; SGPRBlocks: 3
; VGPRBlocks: 11
; NumSGPRsForWavesPerEU: 29
; NumVGPRsForWavesPerEU: 95
; Occupancy: 10
; WaveLimiterHint : 1
; COMPUTE_PGM_RSRC2:SCRATCH_EN: 0
; COMPUTE_PGM_RSRC2:USER_SGPR: 6
; COMPUTE_PGM_RSRC2:TRAP_HANDLER: 0
; COMPUTE_PGM_RSRC2:TGID_X_EN: 1
; COMPUTE_PGM_RSRC2:TGID_Y_EN: 0
; COMPUTE_PGM_RSRC2:TGID_Z_EN: 0
; COMPUTE_PGM_RSRC2:TIDIG_COMP_CNT: 0
	.text
	.p2alignl 6, 3214868480
	.fill 48, 4, 3214868480
	.type	__hip_cuid_d18c2fdde7c72f33,@object ; @__hip_cuid_d18c2fdde7c72f33
	.section	.bss,"aw",@nobits
	.globl	__hip_cuid_d18c2fdde7c72f33
__hip_cuid_d18c2fdde7c72f33:
	.byte	0                               ; 0x0
	.size	__hip_cuid_d18c2fdde7c72f33, 1

	.ident	"AMD clang version 19.0.0git (https://github.com/RadeonOpenCompute/llvm-project roc-6.4.0 25133 c7fe45cf4b819c5991fe208aaa96edf142730f1d)"
	.section	".note.GNU-stack","",@progbits
	.addrsig
	.addrsig_sym __hip_cuid_d18c2fdde7c72f33
	.amdgpu_metadata
---
amdhsa.kernels:
  - .args:
      - .actual_access:  read_only
        .address_space:  global
        .offset:         0
        .size:           8
        .value_kind:     global_buffer
      - .offset:         8
        .size:           8
        .value_kind:     by_value
      - .actual_access:  read_only
        .address_space:  global
        .offset:         16
        .size:           8
        .value_kind:     global_buffer
      - .actual_access:  read_only
        .address_space:  global
        .offset:         24
        .size:           8
        .value_kind:     global_buffer
      - .actual_access:  read_only
        .address_space:  global
        .offset:         32
        .size:           8
        .value_kind:     global_buffer
      - .offset:         40
        .size:           8
        .value_kind:     by_value
      - .actual_access:  read_only
        .address_space:  global
        .offset:         48
        .size:           8
        .value_kind:     global_buffer
      - .actual_access:  read_only
        .address_space:  global
        .offset:         56
        .size:           8
        .value_kind:     global_buffer
      - .offset:         64
        .size:           4
        .value_kind:     by_value
      - .actual_access:  read_only
        .address_space:  global
        .offset:         72
        .size:           8
        .value_kind:     global_buffer
      - .actual_access:  read_only
        .address_space:  global
        .offset:         80
        .size:           8
        .value_kind:     global_buffer
      - .actual_access:  read_only
        .address_space:  global
        .offset:         88
        .size:           8
        .value_kind:     global_buffer
      - .actual_access:  write_only
        .address_space:  global
        .offset:         96
        .size:           8
        .value_kind:     global_buffer
    .group_segment_fixed_size: 0
    .kernarg_segment_align: 8
    .kernarg_segment_size: 104
    .language:       OpenCL C
    .language_version:
      - 2
      - 0
    .max_flat_workgroup_size: 99
    .name:           fft_rtc_back_len1782_factors_11_3_3_3_3_2_wgs_99_tpt_99_halfLds_half_op_CI_CI_unitstride_sbrr_dirReg
    .private_segment_fixed_size: 0
    .sgpr_count:     29
    .sgpr_spill_count: 0
    .symbol:         fft_rtc_back_len1782_factors_11_3_3_3_3_2_wgs_99_tpt_99_halfLds_half_op_CI_CI_unitstride_sbrr_dirReg.kd
    .uniform_work_group_size: 1
    .uses_dynamic_stack: false
    .vgpr_count:     95
    .vgpr_spill_count: 0
    .wavefront_size: 32
    .workgroup_processor_mode: 1
amdhsa.target:   amdgcn-amd-amdhsa--gfx1030
amdhsa.version:
  - 1
  - 2
...

	.end_amdgpu_metadata
